;; amdgpu-corpus repo=ROCm/rocFFT kind=compiled arch=gfx906 opt=O3
	.text
	.amdgcn_target "amdgcn-amd-amdhsa--gfx906"
	.amdhsa_code_object_version 6
	.protected	bluestein_single_back_len2700_dim1_sp_op_CI_CI ; -- Begin function bluestein_single_back_len2700_dim1_sp_op_CI_CI
	.globl	bluestein_single_back_len2700_dim1_sp_op_CI_CI
	.p2align	8
	.type	bluestein_single_back_len2700_dim1_sp_op_CI_CI,@function
bluestein_single_back_len2700_dim1_sp_op_CI_CI: ; @bluestein_single_back_len2700_dim1_sp_op_CI_CI
; %bb.0:
	s_load_dwordx4 s[12:15], s[4:5], 0x28
	s_mov_b64 s[26:27], s[2:3]
	v_mul_u32_u24_e32 v3, 0x2d9, v0
	s_mov_b64 s[24:25], s[0:1]
	v_add_u32_sdwa v1, s6, v3 dst_sel:DWORD dst_unused:UNUSED_PAD src0_sel:DWORD src1_sel:WORD_1
	v_mov_b32_e32 v2, 0
	s_add_u32 s24, s24, s7
	s_waitcnt lgkmcnt(0)
	v_cmp_gt_u64_e32 vcc, s[12:13], v[1:2]
	s_addc_u32 s25, s25, 0
	s_and_saveexec_b64 s[0:1], vcc
	s_cbranch_execz .LBB0_2
; %bb.1:
	s_load_dwordx4 s[8:11], s[4:5], 0x0
	s_load_dwordx4 s[20:23], s[4:5], 0x18
	s_load_dwordx2 s[12:13], s[4:5], 0x38
	s_movk_i32 s16, 0x5a
	v_mul_lo_u16_sdwa v2, v3, s16 dst_sel:DWORD dst_unused:UNUSED_PAD src0_sel:WORD_1 src1_sel:DWORD
	v_sub_u16_e32 v173, v0, v2
	s_waitcnt lgkmcnt(0)
	s_load_dwordx4 s[0:3], s[22:23], 0x0
	v_lshlrev_b32_e32 v84, 3, v173
	v_add_u32_e32 v213, 0x2000, v84
	v_add_u32_e32 v238, 0x1000, v84
	;; [unrolled: 1-line block ×3, first 2 shown]
	s_waitcnt lgkmcnt(0)
	v_mad_u64_u32 v[4:5], s[4:5], s2, v1, 0
	v_add_u32_e32 v197, 0x4c00, v84
	v_mov_b32_e32 v194, v56
	v_mov_b32_e32 v0, v5
	v_mad_u64_u32 v[2:3], s[2:3], s3, v1, v[0:1]
	v_add_u32_e32 v199, 0x168, v173
	v_add_u32_e32 v200, 0x1c2, v173
	v_mov_b32_e32 v5, v2
	buffer_store_dword v4, off, s[24:27], 0 offset:200 ; 4-byte Folded Spill
	s_nop 0
	buffer_store_dword v5, off, s[24:27], 0 offset:204 ; 4-byte Folded Spill
	s_load_dwordx4 s[4:7], s[20:21], 0x0
	v_mov_b32_e32 v206, s11
                                        ; kill: killed $sgpr8_sgpr9
	s_waitcnt lgkmcnt(0)
	v_mad_u64_u32 v[2:3], s[2:3], s6, v1, 0
	s_mul_i32 s6, s4, 0x1c20
	v_mov_b32_e32 v0, v3
	v_mad_u64_u32 v[0:1], s[2:3], s7, v1, v[0:1]
	s_movk_i32 s7, 0x3000
	v_mov_b32_e32 v3, v0
	v_mad_u64_u32 v[0:1], s[2:3], s4, v173, 0
	v_mad_u64_u32 v[4:5], s[2:3], s5, v173, v[1:2]
	global_load_dwordx2 v[5:6], v84, s[8:9]
	v_lshlrev_b64 v[2:3], 3, v[2:3]
	v_mov_b32_e32 v1, v4
	v_add_co_u32_e32 v2, vcc, s14, v2
	v_mov_b32_e32 v4, s15
	v_lshlrev_b64 v[0:1], 3, v[0:1]
	v_addc_co_u32_e32 v3, vcc, v4, v3, vcc
	v_add_co_u32_e32 v0, vcc, v2, v0
	v_addc_co_u32_e32 v1, vcc, v3, v1, vcc
	global_load_dwordx2 v[2:3], v[0:1], off
	v_add_co_u32_e32 v212, vcc, s8, v84
	v_mov_b32_e32 v4, s9
	v_addc_co_u32_e32 v87, vcc, 0, v4, vcc
	s_mul_i32 s2, s5, 0x1c20
	s_mul_hi_u32 s3, s4, 0x1c20
	s_add_i32 s3, s3, s2
	v_add_co_u32_e32 v0, vcc, s6, v0
	s_movk_i32 s2, 0x1000
	s_mulk_i32 s5, 0xca90
	s_waitcnt vmcnt(1)
	buffer_store_dword v5, off, s[24:27], 0 offset:232 ; 4-byte Folded Spill
	s_nop 0
	buffer_store_dword v6, off, s[24:27], 0 offset:236 ; 4-byte Folded Spill
	s_waitcnt vmcnt(2)
	v_mul_f32_e32 v4, v3, v6
	v_fmac_f32_e32 v4, v2, v5
	v_mul_f32_e32 v2, v2, v6
	v_fma_f32 v5, v3, v5, -v2
	v_mov_b32_e32 v2, s3
	v_addc_co_u32_e32 v1, vcc, v1, v2, vcc
	v_add_co_u32_e32 v2, vcc, s2, v212
	v_addc_co_u32_e32 v3, vcc, 0, v87, vcc
	global_load_dwordx2 v[9:10], v[2:3], off offset:3104
	global_load_dwordx2 v[6:7], v[0:1], off
                                        ; kill: killed $vgpr2 killed $vgpr3
	s_waitcnt vmcnt(1)
	buffer_store_dword v9, off, s[24:27], 0 offset:224 ; 4-byte Folded Spill
	s_nop 0
	buffer_store_dword v10, off, s[24:27], 0 offset:228 ; 4-byte Folded Spill
	s_waitcnt vmcnt(2)
	v_mul_f32_e32 v8, v7, v10
	v_fmac_f32_e32 v8, v6, v9
	v_mul_f32_e32 v6, v6, v10
	v_fma_f32 v9, v7, v9, -v6
	v_add_co_u32_e32 v6, vcc, s6, v0
	v_mov_b32_e32 v0, s3
	v_addc_co_u32_e32 v7, vcc, v1, v0, vcc
	v_add_co_u32_e32 v0, vcc, s7, v212
	v_addc_co_u32_e32 v1, vcc, 0, v87, vcc
	global_load_dwordx2 v[11:12], v[0:1], off offset:2112
	ds_write_b64 v84, v[8:9] offset:7200
	global_load_dwordx2 v[8:9], v[6:7], off
	s_mul_hi_u32 s7, s4, 0xffffca90
	s_sub_i32 s7, s7, s4
	v_add_co_u32_e32 v156, vcc, s16, v173
	s_add_i32 s5, s7, s5
	s_mulk_i32 s4, 0xca90
	v_add_co_u32_e32 v6, vcc, s4, v6
	s_movk_i32 s7, 0xb4
                                        ; kill: killed $vgpr0 killed $vgpr1
	s_waitcnt vmcnt(1)
	buffer_store_dword v11, off, s[24:27], 0 offset:208 ; 4-byte Folded Spill
	s_nop 0
	buffer_store_dword v12, off, s[24:27], 0 offset:212 ; 4-byte Folded Spill
	s_waitcnt vmcnt(2)
	v_mul_f32_e32 v10, v9, v12
	v_fmac_f32_e32 v10, v8, v11
	v_mul_f32_e32 v8, v8, v12
	v_fma_f32 v11, v9, v11, -v8
	v_mov_b32_e32 v8, s5
	ds_write_b64 v84, v[10:11] offset:14400
	v_addc_co_u32_e32 v7, vcc, v7, v8, vcc
	global_load_dwordx2 v[8:9], v[6:7], off
	global_load_dwordx2 v[11:12], v84, s[8:9] offset:720
	s_waitcnt vmcnt(0)
	buffer_store_dword v11, off, s[24:27], 0 offset:216 ; 4-byte Folded Spill
	s_nop 0
	buffer_store_dword v12, off, s[24:27], 0 offset:220 ; 4-byte Folded Spill
	v_mul_f32_e32 v10, v9, v12
	v_fmac_f32_e32 v10, v8, v11
	v_mul_f32_e32 v8, v8, v12
	v_fma_f32 v11, v9, v11, -v8
	ds_write2_b64 v84, v[4:5], v[10:11] offset1:90
	v_add_co_u32_e32 v4, vcc, s6, v6
	v_mov_b32_e32 v5, s3
	v_addc_co_u32_e32 v5, vcc, v7, v5, vcc
	global_load_dwordx2 v[6:7], v[4:5], off
	global_load_dwordx2 v[9:10], v[2:3], off offset:3824
	v_add_co_u32_e32 v4, vcc, s6, v4
	s_waitcnt vmcnt(0)
	buffer_store_dword v9, off, s[24:27], 0 offset:192 ; 4-byte Folded Spill
	s_nop 0
	buffer_store_dword v10, off, s[24:27], 0 offset:196 ; 4-byte Folded Spill
	v_mul_f32_e32 v8, v7, v10
	v_fmac_f32_e32 v8, v6, v9
	v_mul_f32_e32 v6, v6, v10
	v_fma_f32 v9, v7, v9, -v6
	v_mov_b32_e32 v6, s3
	v_addc_co_u32_e32 v5, vcc, v5, v6, vcc
	global_load_dwordx2 v[6:7], v[4:5], off
	global_load_dwordx2 v[11:12], v[0:1], off offset:2832
	v_add_co_u32_e32 v157, vcc, s7, v173
	v_add_co_u32_e32 v4, vcc, s4, v4
	s_movk_i32 s7, 0x2000
	s_waitcnt vmcnt(0)
	buffer_store_dword v11, off, s[24:27], 0 offset:168 ; 4-byte Folded Spill
	s_nop 0
	buffer_store_dword v12, off, s[24:27], 0 offset:172 ; 4-byte Folded Spill
	v_mul_f32_e32 v10, v7, v12
	v_fmac_f32_e32 v10, v6, v11
	v_mul_f32_e32 v6, v6, v12
	v_fma_f32 v11, v7, v11, -v6
	v_mov_b32_e32 v6, s5
	v_addc_co_u32_e32 v5, vcc, v5, v6, vcc
	global_load_dwordx2 v[6:7], v[4:5], off
	global_load_dwordx2 v[13:14], v84, s[8:9] offset:1440
	v_add_co_u32_e32 v4, vcc, s6, v4
	s_waitcnt vmcnt(0)
	buffer_store_dword v13, off, s[24:27], 0 offset:184 ; 4-byte Folded Spill
	s_nop 0
	buffer_store_dword v14, off, s[24:27], 0 offset:188 ; 4-byte Folded Spill
	v_mul_f32_e32 v12, v7, v14
	v_fmac_f32_e32 v12, v6, v13
	v_mul_f32_e32 v6, v6, v14
	v_fma_f32 v13, v7, v13, -v6
	v_mov_b32_e32 v6, s3
	v_addc_co_u32_e32 v5, vcc, v5, v6, vcc
	v_add_co_u32_e32 v14, vcc, s7, v212
	v_addc_co_u32_e32 v15, vcc, 0, v87, vcc
	global_load_dwordx2 v[17:18], v[14:15], off offset:448
	global_load_dwordx2 v[6:7], v[4:5], off
	v_add_co_u32_e32 v4, vcc, s6, v4
	s_movk_i32 s7, 0x10e
                                        ; kill: killed $vgpr14 killed $vgpr15
	s_waitcnt vmcnt(1)
	buffer_store_dword v17, off, s[24:27], 0 offset:144 ; 4-byte Folded Spill
	s_nop 0
	buffer_store_dword v18, off, s[24:27], 0 offset:148 ; 4-byte Folded Spill
	s_waitcnt vmcnt(2)
	v_mul_f32_e32 v16, v7, v18
	v_fmac_f32_e32 v16, v6, v17
	v_mul_f32_e32 v6, v6, v18
	v_fma_f32 v17, v7, v17, -v6
	v_add_u32_e32 v6, 0x1c00, v84
	ds_write2_b64 v6, v[8:9], v[16:17] offset0:94 offset1:184
	v_mov_b32_e32 v202, v6
	v_mov_b32_e32 v6, s3
	v_addc_co_u32_e32 v5, vcc, v5, v6, vcc
	global_load_dwordx2 v[6:7], v[4:5], off
	global_load_dwordx2 v[16:17], v[0:1], off offset:3552
	v_add_co_u32_e32 v198, vcc, s7, v173
	v_addc_co_u32_e64 v158, s[14:15], 0, 0, vcc
	v_add_co_u32_e32 v4, vcc, s4, v4
	s_movk_i32 s7, 0x4000
	s_waitcnt vmcnt(0)
	buffer_store_dword v16, off, s[24:27], 0 offset:112 ; 4-byte Folded Spill
	s_nop 0
	buffer_store_dword v17, off, s[24:27], 0 offset:116 ; 4-byte Folded Spill
	v_mul_f32_e32 v8, v7, v17
	v_fmac_f32_e32 v8, v6, v16
	v_mul_f32_e32 v6, v6, v17
	v_fma_f32 v9, v7, v16, -v6
	v_add_u32_e32 v6, 0x3800, v84
	ds_write2_b64 v6, v[10:11], v[8:9] offset0:98 offset1:188
	v_mov_b32_e32 v24, v6
	v_mov_b32_e32 v6, s5
	v_addc_co_u32_e32 v5, vcc, v5, v6, vcc
	global_load_dwordx2 v[6:7], v[4:5], off
	global_load_dwordx2 v[9:10], v84, s[8:9] offset:2160
	v_add_co_u32_e32 v4, vcc, s6, v4
	v_mov_b32_e32 v66, v24
	s_waitcnt vmcnt(0)
	buffer_store_dword v9, off, s[24:27], 0 offset:152 ; 4-byte Folded Spill
	s_nop 0
	buffer_store_dword v10, off, s[24:27], 0 offset:156 ; 4-byte Folded Spill
	v_mul_f32_e32 v8, v7, v10
	v_fmac_f32_e32 v8, v6, v9
	v_mul_f32_e32 v6, v6, v10
	v_fma_f32 v9, v7, v9, -v6
	v_add_u32_e32 v6, 0x400, v84
	ds_write2_b64 v6, v[12:13], v[8:9] offset0:52 offset1:142
	v_mov_b32_e32 v28, v6
	v_mov_b32_e32 v6, s3
	v_addc_co_u32_e32 v5, vcc, v5, v6, vcc
	global_load_dwordx2 v[6:7], v[4:5], off
	global_load_dwordx2 v[9:10], v[14:15], off offset:1168
	v_mov_b32_e32 v67, v28
	v_mov_b32_e32 v174, v67
	s_waitcnt vmcnt(0)
	buffer_store_dword v9, off, s[24:27], 0 offset:176 ; 4-byte Folded Spill
	s_nop 0
	buffer_store_dword v10, off, s[24:27], 0 offset:180 ; 4-byte Folded Spill
	v_mul_f32_e32 v8, v7, v10
	v_fmac_f32_e32 v8, v6, v9
	v_mul_f32_e32 v6, v6, v10
	v_fma_f32 v9, v7, v9, -v6
	v_add_co_u32_e32 v6, vcc, s6, v4
	v_mov_b32_e32 v4, s3
	v_addc_co_u32_e32 v7, vcc, v5, v4, vcc
	v_add_co_u32_e32 v4, vcc, s7, v212
	v_addc_co_u32_e32 v5, vcc, 0, v87, vcc
	global_load_dwordx2 v[16:17], v[4:5], off offset:176
	global_load_dwordx2 v[10:11], v[6:7], off
	v_add_co_u32_e32 v6, vcc, s4, v6
	s_movk_i32 s7, 0x21c
                                        ; kill: killed $vgpr4 killed $vgpr5
	s_waitcnt vmcnt(1)
	buffer_store_dword v16, off, s[24:27], 0 offset:160 ; 4-byte Folded Spill
	s_nop 0
	buffer_store_dword v17, off, s[24:27], 0 offset:164 ; 4-byte Folded Spill
	s_waitcnt vmcnt(2)
	v_mul_f32_e32 v12, v11, v17
	v_fmac_f32_e32 v12, v10, v16
	v_mul_f32_e32 v10, v10, v17
	v_fma_f32 v13, v11, v16, -v10
	v_mov_b32_e32 v10, s5
	v_addc_co_u32_e32 v7, vcc, v7, v10, vcc
	global_load_dwordx2 v[10:11], v[6:7], off
	global_load_dwordx2 v[17:18], v84, s[8:9] offset:2880
	v_add_co_u32_e32 v6, vcc, s6, v6
	s_waitcnt vmcnt(0)
	buffer_store_dword v17, off, s[24:27], 0 offset:136 ; 4-byte Folded Spill
	s_nop 0
	buffer_store_dword v18, off, s[24:27], 0 offset:140 ; 4-byte Folded Spill
	v_mul_f32_e32 v16, v11, v18
	v_fmac_f32_e32 v16, v10, v17
	v_mul_f32_e32 v10, v10, v18
	v_fma_f32 v17, v11, v17, -v10
	v_mov_b32_e32 v10, s3
	v_addc_co_u32_e32 v7, vcc, v7, v10, vcc
	global_load_dwordx2 v[10:11], v[6:7], off
	global_load_dwordx2 v[19:20], v[14:15], off offset:1888
	v_add_co_u32_e32 v6, vcc, s6, v6
	s_waitcnt vmcnt(0)
	buffer_store_dword v19, off, s[24:27], 0 offset:120 ; 4-byte Folded Spill
	s_nop 0
	buffer_store_dword v20, off, s[24:27], 0 offset:124 ; 4-byte Folded Spill
	v_mul_f32_e32 v18, v11, v20
	v_fmac_f32_e32 v18, v10, v19
	v_mul_f32_e32 v10, v10, v20
	v_fma_f32 v19, v11, v19, -v10
	ds_write2_b64 v213, v[8:9], v[18:19] offset0:146 offset1:236
	v_mov_b32_e32 v8, s3
	v_addc_co_u32_e32 v7, vcc, v7, v8, vcc
	global_load_dwordx2 v[8:9], v[6:7], off
	global_load_dwordx2 v[18:19], v[4:5], off offset:896
	v_add_co_u32_e32 v6, vcc, s4, v6
	s_waitcnt vmcnt(0)
	buffer_store_dword v18, off, s[24:27], 0 offset:128 ; 4-byte Folded Spill
	s_nop 0
	buffer_store_dword v19, off, s[24:27], 0 offset:132 ; 4-byte Folded Spill
	v_mul_f32_e32 v10, v9, v19
	v_fmac_f32_e32 v10, v8, v18
	v_mul_f32_e32 v8, v8, v19
	v_fma_f32 v11, v9, v18, -v8
	v_add_u32_e32 v8, 0x4000, v84
	ds_write2_b64 v8, v[12:13], v[10:11] offset0:22 offset1:112
	v_mov_b32_e32 v45, v8
	v_mov_b32_e32 v8, s5
	v_addc_co_u32_e32 v7, vcc, v7, v8, vcc
	global_load_dwordx2 v[8:9], v[6:7], off
	global_load_dwordx2 v[11:12], v84, s[8:9] offset:3600
	v_add_co_u32_e32 v6, vcc, s6, v6
	v_mov_b32_e32 v76, v45
	v_mov_b32_e32 v172, v76
	s_waitcnt vmcnt(0)
	buffer_store_dword v11, off, s[24:27], 0 offset:104 ; 4-byte Folded Spill
	s_nop 0
	buffer_store_dword v12, off, s[24:27], 0 offset:108 ; 4-byte Folded Spill
	v_mul_f32_e32 v10, v9, v12
	v_fmac_f32_e32 v10, v8, v11
	v_mul_f32_e32 v8, v8, v12
	v_fma_f32 v11, v9, v11, -v8
	v_add_u32_e32 v8, 0x800, v84
	ds_write2_b64 v8, v[16:17], v[10:11] offset0:104 offset1:194
	v_mov_b32_e32 v196, v8
	v_mov_b32_e32 v8, s3
	v_addc_co_u32_e32 v7, vcc, v7, v8, vcc
	global_load_dwordx2 v[8:9], v[6:7], off
	global_load_dwordx2 v[11:12], v[14:15], off offset:2608
	v_add_co_u32_e32 v6, vcc, s6, v6
	s_waitcnt vmcnt(0)
	buffer_store_dword v11, off, s[24:27], 0 offset:96 ; 4-byte Folded Spill
	s_nop 0
	buffer_store_dword v12, off, s[24:27], 0 offset:100 ; 4-byte Folded Spill
	v_mul_f32_e32 v10, v9, v12
	v_fmac_f32_e32 v10, v8, v11
	v_mul_f32_e32 v8, v8, v12
	v_fma_f32 v11, v9, v11, -v8
	v_mov_b32_e32 v8, s3
	v_addc_co_u32_e32 v7, vcc, v7, v8, vcc
	global_load_dwordx2 v[8:9], v[6:7], off
	global_load_dwordx2 v[16:17], v[4:5], off offset:1616
	v_add_co_u32_e32 v203, vcc, s7, v173
	s_waitcnt vmcnt(0)
	buffer_store_dword v16, off, s[24:27], 0 offset:88 ; 4-byte Folded Spill
	s_nop 0
	buffer_store_dword v17, off, s[24:27], 0 offset:92 ; 4-byte Folded Spill
	v_add_co_u32_e32 v6, vcc, s4, v6
	s_movk_i32 s7, 0x276
	v_mul_f32_e32 v12, v9, v17
	v_fmac_f32_e32 v12, v8, v16
	v_mul_f32_e32 v8, v8, v17
	v_fma_f32 v13, v9, v16, -v8
	v_mov_b32_e32 v8, s5
	v_addc_co_u32_e32 v7, vcc, v7, v8, vcc
	global_load_dwordx2 v[8:9], v[6:7], off
	global_load_dwordx2 v[17:18], v[2:3], off offset:224
	s_waitcnt vmcnt(0)
	buffer_store_dword v17, off, s[24:27], 0 offset:72 ; 4-byte Folded Spill
	s_nop 0
	buffer_store_dword v18, off, s[24:27], 0 offset:76 ; 4-byte Folded Spill
	v_add_co_u32_e32 v6, vcc, s6, v6
	v_mul_f32_e32 v16, v9, v18
	v_fmac_f32_e32 v16, v8, v17
	v_mul_f32_e32 v8, v8, v18
	v_fma_f32 v17, v9, v17, -v8
	v_mov_b32_e32 v8, s3
	v_addc_co_u32_e32 v7, vcc, v7, v8, vcc
	global_load_dwordx2 v[8:9], v[6:7], off
	global_load_dwordx2 v[19:20], v[14:15], off offset:3328
	s_waitcnt vmcnt(0)
	buffer_store_dword v19, off, s[24:27], 0 offset:56 ; 4-byte Folded Spill
	s_nop 0
	buffer_store_dword v20, off, s[24:27], 0 offset:60 ; 4-byte Folded Spill
	v_add_co_u32_e32 v6, vcc, s6, v6
	v_mul_f32_e32 v18, v9, v20
	v_fmac_f32_e32 v18, v8, v19
	v_mul_f32_e32 v8, v8, v20
	v_fma_f32 v19, v9, v19, -v8
	v_add_u32_e32 v8, 0x2800, v84
	ds_write2_b64 v8, v[10:11], v[18:19] offset0:70 offset1:160
	v_mov_b32_e32 v48, v8
	v_mov_b32_e32 v8, s3
	v_addc_co_u32_e32 v7, vcc, v7, v8, vcc
	global_load_dwordx2 v[8:9], v[6:7], off
	global_load_dwordx2 v[18:19], v[4:5], off offset:2336
	s_waitcnt vmcnt(0)
	buffer_store_dword v18, off, s[24:27], 0 offset:32 ; 4-byte Folded Spill
	s_nop 0
	buffer_store_dword v19, off, s[24:27], 0 offset:36 ; 4-byte Folded Spill
	v_add_co_u32_e32 v204, vcc, s7, v173
	v_add_co_u32_e32 v6, vcc, s4, v6
	s_movk_i32 s7, 0x2d0
	v_mov_b32_e32 v77, v48
	v_mov_b32_e32 v208, v77
	v_mov_b32_e32 v85, v208
	v_mul_f32_e32 v10, v9, v19
	v_fmac_f32_e32 v10, v8, v18
	v_mul_f32_e32 v8, v8, v19
	v_fma_f32 v11, v9, v18, -v8
	v_add_u32_e32 v8, 0x4400, v84
	ds_write2_b64 v8, v[12:13], v[10:11] offset0:74 offset1:164
	v_mov_b32_e32 v8, s5
	v_addc_co_u32_e32 v7, vcc, v7, v8, vcc
	global_load_dwordx2 v[8:9], v[6:7], off
	global_load_dwordx2 v[11:12], v[2:3], off offset:944
	s_waitcnt vmcnt(0)
	buffer_store_dword v11, off, s[24:27], 0 offset:24 ; 4-byte Folded Spill
	s_nop 0
	buffer_store_dword v12, off, s[24:27], 0 offset:28 ; 4-byte Folded Spill
	v_add_co_u32_e32 v6, vcc, s6, v6
	v_mul_f32_e32 v10, v9, v12
	v_fmac_f32_e32 v10, v8, v11
	v_mul_f32_e32 v8, v8, v12
	v_fma_f32 v11, v9, v11, -v8
	v_mov_b32_e32 v8, s3
	ds_write2_b64 v238, v[16:17], v[10:11] offset0:28 offset1:118
	v_addc_co_u32_e32 v7, vcc, v7, v8, vcc
	global_load_dwordx2 v[8:9], v[6:7], off
	global_load_dwordx2 v[11:12], v[14:15], off offset:4048
	s_waitcnt vmcnt(0)
	buffer_store_dword v11, off, s[24:27], 0 offset:16 ; 4-byte Folded Spill
	s_nop 0
	buffer_store_dword v12, off, s[24:27], 0 offset:20 ; 4-byte Folded Spill
	v_add_co_u32_e32 v6, vcc, s6, v6
	v_mul_f32_e32 v10, v9, v12
	v_fmac_f32_e32 v10, v8, v11
	v_mul_f32_e32 v8, v8, v12
	v_fma_f32 v11, v9, v11, -v8
	v_mov_b32_e32 v8, s3
	v_addc_co_u32_e32 v7, vcc, v7, v8, vcc
	global_load_dwordx2 v[8:9], v[6:7], off
	global_load_dwordx2 v[13:14], v[4:5], off offset:3056
	s_waitcnt vmcnt(0)
	buffer_store_dword v13, off, s[24:27], 0 offset:8 ; 4-byte Folded Spill
	s_nop 0
	buffer_store_dword v14, off, s[24:27], 0 offset:12 ; 4-byte Folded Spill
	v_add_co_u32_e32 v205, vcc, s7, v173
	v_add_co_u32_e32 v6, vcc, s4, v6
	s_movk_i32 s7, 0x32a
	v_mul_f32_e32 v12, v9, v14
	v_fmac_f32_e32 v12, v8, v13
	v_mul_f32_e32 v8, v8, v14
	v_fma_f32 v13, v9, v13, -v8
	v_mov_b32_e32 v8, s5
	v_addc_co_u32_e32 v7, vcc, v7, v8, vcc
	global_load_dwordx2 v[8:9], v[6:7], off
	global_load_dwordx2 v[15:16], v[2:3], off offset:1664
	s_waitcnt vmcnt(0)
	buffer_store_dword v15, off, s[24:27], 0 ; 4-byte Folded Spill
	s_nop 0
	buffer_store_dword v16, off, s[24:27], 0 offset:4 ; 4-byte Folded Spill
	v_add_co_u32_e32 v6, vcc, s6, v6
	v_mul_f32_e32 v14, v9, v16
	v_fmac_f32_e32 v14, v8, v15
	v_mul_f32_e32 v8, v8, v16
	v_fma_f32 v15, v9, v15, -v8
	v_mov_b32_e32 v8, s3
	v_addc_co_u32_e32 v7, vcc, v7, v8, vcc
	global_load_dwordx2 v[8:9], v[6:7], off
	global_load_dwordx2 v[17:18], v[0:1], off offset:672
	s_waitcnt vmcnt(0)
	buffer_store_dword v17, off, s[24:27], 0 offset:80 ; 4-byte Folded Spill
	s_nop 0
	buffer_store_dword v18, off, s[24:27], 0 offset:84 ; 4-byte Folded Spill
	v_add_co_u32_e32 v6, vcc, s6, v6
	v_mul_f32_e32 v16, v9, v18
	v_fmac_f32_e32 v16, v8, v17
	v_mul_f32_e32 v8, v8, v18
	v_fma_f32 v17, v9, v17, -v8
	v_add_u32_e32 v8, 0x2c00, v84
	ds_write2_b64 v8, v[10:11], v[16:17] offset0:122 offset1:212
	v_mov_b32_e32 v8, s3
	v_addc_co_u32_e32 v7, vcc, v7, v8, vcc
	global_load_dwordx2 v[8:9], v[6:7], off
	global_load_dwordx2 v[10:11], v[4:5], off offset:3776
	s_waitcnt vmcnt(0)
	buffer_store_dword v10, off, s[24:27], 0 offset:48 ; 4-byte Folded Spill
	s_nop 0
	buffer_store_dword v11, off, s[24:27], 0 offset:52 ; 4-byte Folded Spill
	v_add_co_u32_e32 v207, vcc, s7, v173
	v_mul_f32_e32 v4, v9, v11
	v_mul_f32_e32 v5, v8, v11
	v_fmac_f32_e32 v4, v8, v10
	v_fma_f32 v5, v9, v10, -v5
	v_add_u32_e32 v8, 0x4800, v84
	ds_write2_b64 v8, v[12:13], v[4:5] offset0:126 offset1:216
	v_add_co_u32_e32 v4, vcc, s4, v6
	v_mov_b32_e32 v5, s5
	v_addc_co_u32_e32 v5, vcc, v7, v5, vcc
	v_mov_b32_e32 v52, v8
	global_load_dwordx2 v[6:7], v[4:5], off
	global_load_dwordx2 v[8:9], v[2:3], off offset:2384
	s_waitcnt vmcnt(0)
	buffer_store_dword v8, off, s[24:27], 0 offset:40 ; 4-byte Folded Spill
	s_nop 0
	buffer_store_dword v9, off, s[24:27], 0 offset:44 ; 4-byte Folded Spill
	v_mov_b32_e32 v70, v52
	v_mov_b32_e32 v170, v70
	v_mul_f32_e32 v2, v7, v9
	v_mul_f32_e32 v3, v6, v9
	v_fmac_f32_e32 v2, v6, v8
	v_fma_f32 v3, v7, v8, -v3
	v_add_u32_e32 v6, 0x1400, v84
	ds_write2_b64 v6, v[14:15], v[2:3] offset0:80 offset1:170
	v_add_co_u32_e32 v2, vcc, s6, v4
	v_mov_b32_e32 v3, s3
	v_addc_co_u32_e32 v3, vcc, v5, v3, vcc
	v_mov_b32_e32 v201, v6
	global_load_dwordx2 v[4:5], v[2:3], off
	global_load_dwordx2 v[6:7], v[0:1], off offset:1392
	s_waitcnt vmcnt(0)
	buffer_store_dword v6, off, s[24:27], 0 offset:64 ; 4-byte Folded Spill
	s_nop 0
	buffer_store_dword v7, off, s[24:27], 0 offset:68 ; 4-byte Folded Spill
	v_mul_f32_e32 v0, v5, v7
	v_mul_f32_e32 v1, v4, v7
	v_fmac_f32_e32 v0, v4, v6
	v_fma_f32 v1, v5, v6, -v1
	ds_write_b64 v84, v[0:1] offset:13680
	v_add_co_u32_e32 v0, vcc, s6, v2
	v_mov_b32_e32 v1, s3
	v_addc_co_u32_e32 v1, vcc, v3, v1, vcc
	s_movk_i32 s3, 0x5000
	v_add_co_u32_e32 v2, vcc, s3, v212
	v_addc_co_u32_e32 v3, vcc, 0, v87, vcc
	global_load_dwordx2 v[0:1], v[0:1], off
	s_nop 0
	buffer_store_dword v2, off, s[24:27], 0 offset:396 ; 4-byte Folded Spill
	s_nop 0
	buffer_store_dword v3, off, s[24:27], 0 offset:400 ; 4-byte Folded Spill
	s_movk_i32 s6, 0xab
	s_movk_i32 s3, 0x48
	global_load_dwordx2 v[2:3], v[2:3], off offset:400
	s_waitcnt vmcnt(0)
	v_mov_b32_e32 v4, v3
	v_mov_b32_e32 v3, v2
	v_mul_f32_e32 v2, v1, v4
	v_fmac_f32_e32 v2, v0, v3
	v_mul_f32_e32 v0, v0, v4
	buffer_store_dword v3, off, s[24:27], 0 offset:240 ; 4-byte Folded Spill
	s_nop 0
	buffer_store_dword v4, off, s[24:27], 0 offset:244 ; 4-byte Folded Spill
	v_fma_f32 v3, v1, v3, -v0
	v_add_u32_e32 v0, 0x1800, v84
	ds_write_b64 v84, v[2:3] offset:20880
	s_waitcnt vmcnt(0) lgkmcnt(0)
	s_barrier
	ds_read2_b64 v[20:23], v0 offset0:132 offset1:222
	ds_read2_b64 v[24:27], v24 offset0:8 offset1:98
	ds_read2_b64 v[16:19], v84 offset1:90
	v_mov_b32_e32 v64, v0
	v_add_u32_e32 v0, 0x3c00, v84
	ds_read2_b64 v[12:15], v28 offset0:52 offset1:142
	ds_read2_b64 v[28:31], v213 offset0:56 offset1:146
	s_waitcnt lgkmcnt(3)
	v_add_f32_e32 v61, v20, v24
	s_waitcnt lgkmcnt(2)
	v_add_f32_e32 v60, v16, v20
	v_fma_f32 v16, -0.5, v61, v16
	v_sub_f32_e32 v61, v21, v25
	v_mov_b32_e32 v62, v16
	v_fmac_f32_e32 v62, 0x3f5db3d7, v61
	v_fmac_f32_e32 v16, 0xbf5db3d7, v61
	v_add_f32_e32 v61, v17, v21
	v_add_f32_e32 v21, v21, v25
	v_fma_f32 v17, -0.5, v21, v17
	ds_read2_b64 v[32:35], v0 offset0:60 offset1:150
	v_sub_f32_e32 v20, v20, v24
	v_mov_b32_e32 v63, v17
	v_add_f32_e32 v21, v22, v26
	v_fmac_f32_e32 v63, 0xbf5db3d7, v20
	v_fmac_f32_e32 v17, 0x3f5db3d7, v20
	v_add_f32_e32 v20, v18, v22
	v_fma_f32 v18, -0.5, v21, v18
	v_add_f32_e32 v60, v60, v24
	v_sub_f32_e32 v21, v23, v27
	v_mov_b32_e32 v24, v18
	v_fmac_f32_e32 v24, 0x3f5db3d7, v21
	v_fmac_f32_e32 v18, 0xbf5db3d7, v21
	v_add_f32_e32 v21, v19, v23
	v_add_f32_e32 v23, v23, v27
	v_fmac_f32_e32 v19, -0.5, v23
	v_add_f32_e32 v61, v61, v25
	v_sub_f32_e32 v22, v22, v26
	v_mov_b32_e32 v25, v19
	s_waitcnt lgkmcnt(0)
	v_add_f32_e32 v23, v28, v32
	v_fmac_f32_e32 v25, 0xbf5db3d7, v22
	v_fmac_f32_e32 v19, 0x3f5db3d7, v22
	v_add_f32_e32 v22, v12, v28
	v_fma_f32 v12, -0.5, v23, v12
	v_add_f32_e32 v20, v20, v26
	v_add_f32_e32 v21, v21, v27
	v_sub_f32_e32 v23, v29, v33
	v_mov_b32_e32 v26, v12
	v_add_f32_e32 v27, v29, v33
	v_mov_b32_e32 v69, v0
	v_add_u32_e32 v0, 0x2400, v84
	v_fmac_f32_e32 v26, 0x3f5db3d7, v23
	v_fmac_f32_e32 v12, 0xbf5db3d7, v23
	v_add_f32_e32 v23, v13, v29
	v_fma_f32 v13, -0.5, v27, v13
	ds_read2_b64 v[36:39], v0 offset0:108 offset1:198
	ds_read2_b64 v[40:43], v45 offset0:112 offset1:202
	v_sub_f32_e32 v28, v28, v32
	v_mov_b32_e32 v27, v13
	v_add_f32_e32 v29, v30, v34
	ds_read2_b64 v[8:11], v196 offset0:104 offset1:194
	v_fmac_f32_e32 v27, 0xbf5db3d7, v28
	v_fmac_f32_e32 v13, 0x3f5db3d7, v28
	v_add_f32_e32 v28, v14, v30
	v_fma_f32 v14, -0.5, v29, v14
	v_add_f32_e32 v22, v22, v32
	v_sub_f32_e32 v29, v31, v35
	v_mov_b32_e32 v32, v14
	v_fmac_f32_e32 v32, 0x3f5db3d7, v29
	v_fmac_f32_e32 v14, 0xbf5db3d7, v29
	v_add_f32_e32 v29, v15, v31
	v_add_f32_e32 v31, v31, v35
	v_fmac_f32_e32 v15, -0.5, v31
	v_add_f32_e32 v23, v23, v33
	v_sub_f32_e32 v30, v30, v34
	v_mov_b32_e32 v33, v15
	s_waitcnt lgkmcnt(1)
	v_add_f32_e32 v31, v36, v40
	v_fmac_f32_e32 v33, 0xbf5db3d7, v30
	v_fmac_f32_e32 v15, 0x3f5db3d7, v30
	s_waitcnt lgkmcnt(0)
	v_add_f32_e32 v30, v8, v36
	v_fma_f32 v8, -0.5, v31, v8
	v_add_f32_e32 v28, v28, v34
	v_add_f32_e32 v29, v29, v35
	v_sub_f32_e32 v31, v37, v41
	v_mov_b32_e32 v34, v8
	v_add_f32_e32 v35, v37, v41
	v_fmac_f32_e32 v34, 0x3f5db3d7, v31
	v_fmac_f32_e32 v8, 0xbf5db3d7, v31
	v_add_f32_e32 v31, v9, v37
	v_fma_f32 v9, -0.5, v35, v9
	ds_read2_b64 v[4:7], v238 offset0:28 offset1:118
	ds_read2_b64 v[44:47], v48 offset0:160 offset1:250
	;; [unrolled: 1-line block ×3, first 2 shown]
	v_sub_f32_e32 v36, v36, v40
	v_mov_b32_e32 v35, v9
	v_add_f32_e32 v37, v38, v42
	v_fmac_f32_e32 v35, 0xbf5db3d7, v36
	v_fmac_f32_e32 v9, 0x3f5db3d7, v36
	v_add_f32_e32 v36, v10, v38
	v_fma_f32 v10, -0.5, v37, v10
	v_add_f32_e32 v30, v30, v40
	v_sub_f32_e32 v37, v39, v43
	v_mov_b32_e32 v40, v10
	v_fmac_f32_e32 v40, 0x3f5db3d7, v37
	v_fmac_f32_e32 v10, 0xbf5db3d7, v37
	v_add_f32_e32 v37, v11, v39
	v_add_f32_e32 v39, v39, v43
	v_fmac_f32_e32 v11, -0.5, v39
	v_add_f32_e32 v31, v31, v41
	v_sub_f32_e32 v38, v38, v42
	v_mov_b32_e32 v41, v11
	s_waitcnt lgkmcnt(0)
	v_add_f32_e32 v39, v44, v48
	v_fmac_f32_e32 v41, 0xbf5db3d7, v38
	v_fmac_f32_e32 v11, 0x3f5db3d7, v38
	v_add_f32_e32 v38, v4, v44
	v_fma_f32 v4, -0.5, v39, v4
	v_add_f32_e32 v36, v36, v42
	v_add_f32_e32 v37, v37, v43
	v_sub_f32_e32 v39, v45, v49
	v_mov_b32_e32 v42, v4
	v_add_f32_e32 v43, v45, v49
	v_fmac_f32_e32 v42, 0x3f5db3d7, v39
	v_fmac_f32_e32 v4, 0xbf5db3d7, v39
	v_add_f32_e32 v39, v5, v45
	v_fma_f32 v5, -0.5, v43, v5
	ds_read2_b64 v[52:55], v56 offset0:84 offset1:174
	ds_read2_b64 v[56:59], v197 offset0:88 offset1:178
	v_sub_f32_e32 v44, v44, v48
	v_mov_b32_e32 v43, v5
	v_add_f32_e32 v45, v46, v50
	v_mov_b32_e32 v195, v0
	ds_read2_b64 v[0:3], v201 offset0:80 offset1:170
	v_fmac_f32_e32 v43, 0xbf5db3d7, v44
	v_fmac_f32_e32 v5, 0x3f5db3d7, v44
	v_add_f32_e32 v44, v6, v46
	v_fma_f32 v6, -0.5, v45, v6
	v_add_f32_e32 v38, v38, v48
	v_sub_f32_e32 v45, v47, v51
	v_mov_b32_e32 v48, v6
	v_fmac_f32_e32 v48, 0x3f5db3d7, v45
	v_fmac_f32_e32 v6, 0xbf5db3d7, v45
	v_add_f32_e32 v45, v7, v47
	v_add_f32_e32 v47, v47, v51
	v_fmac_f32_e32 v7, -0.5, v47
	v_add_f32_e32 v39, v39, v49
	v_sub_f32_e32 v46, v46, v50
	v_mov_b32_e32 v49, v7
	s_waitcnt lgkmcnt(1)
	v_add_f32_e32 v47, v52, v56
	v_fmac_f32_e32 v49, 0xbf5db3d7, v46
	v_fmac_f32_e32 v7, 0x3f5db3d7, v46
	s_waitcnt lgkmcnt(0)
	v_add_f32_e32 v46, v0, v52
	v_fma_f32 v0, -0.5, v47, v0
	v_add_f32_e32 v44, v44, v50
	v_add_f32_e32 v45, v45, v51
	v_sub_f32_e32 v47, v53, v57
	v_mov_b32_e32 v50, v0
	v_add_f32_e32 v51, v53, v57
	v_fmac_f32_e32 v50, 0x3f5db3d7, v47
	v_fmac_f32_e32 v0, 0xbf5db3d7, v47
	v_add_f32_e32 v47, v1, v53
	v_fma_f32 v1, -0.5, v51, v1
	v_sub_f32_e32 v52, v52, v56
	v_mov_b32_e32 v51, v1
	v_add_f32_e32 v53, v54, v58
	v_fmac_f32_e32 v51, 0xbf5db3d7, v52
	v_fmac_f32_e32 v1, 0x3f5db3d7, v52
	v_add_f32_e32 v52, v2, v54
	v_fma_f32 v2, -0.5, v53, v2
	v_add_f32_e32 v46, v46, v56
	v_sub_f32_e32 v53, v55, v59
	v_mov_b32_e32 v56, v2
	v_fmac_f32_e32 v56, 0x3f5db3d7, v53
	v_fmac_f32_e32 v2, 0xbf5db3d7, v53
	v_add_f32_e32 v53, v3, v55
	v_add_f32_e32 v55, v55, v59
	v_fmac_f32_e32 v3, -0.5, v55
	v_add_f32_e32 v47, v47, v57
	v_sub_f32_e32 v54, v54, v58
	v_mov_b32_e32 v57, v3
	v_fmac_f32_e32 v57, 0xbf5db3d7, v54
	v_fmac_f32_e32 v3, 0x3f5db3d7, v54
	v_mul_lo_u16_e32 v54, 3, v173
	v_lshlrev_b32_e32 v54, 3, v54
	s_barrier
	buffer_store_dword v54, off, s[24:27], 0 offset:368 ; 4-byte Folded Spill
	ds_write2_b64 v54, v[60:61], v[62:63] offset1:1
	ds_write_b64 v54, v[16:17] offset:16
	v_mul_u32_u24_e32 v16, 3, v156
	v_lshlrev_b32_e32 v16, 3, v16
	buffer_store_dword v16, off, s[24:27], 0 offset:360 ; 4-byte Folded Spill
	ds_write2_b64 v16, v[20:21], v[24:25] offset1:1
	ds_write_b64 v16, v[18:19] offset:16
	v_mul_u32_u24_e32 v16, 3, v157
	v_lshlrev_b32_e32 v16, 3, v16
	;; [unrolled: 5-line block ×7, first 2 shown]
	ds_write2_b64 v4, v[44:45], v[48:49] offset1:1
	v_mul_lo_u16_sdwa v44, v173, s6 dst_sel:DWORD dst_unused:UNUSED_PAD src0_sel:BYTE_0 src1_sel:DWORD
	v_lshrrev_b16_e32 v82, 9, v44
	v_mul_lo_u16_e32 v44, 3, v82
	v_sub_u16_e32 v44, v173, v44
	v_and_b32_e32 v83, 0xff, v44
	v_mov_b32_e32 v45, s11
	v_mov_b32_e32 v44, s10
	buffer_store_dword v4, off, s[24:27], 0 offset:372 ; 4-byte Folded Spill
	ds_write_b64 v4, v[6:7] offset:16
	v_mul_u32_u24_e32 v4, 3, v205
	v_mad_u64_u32 v[80:81], s[4:5], v83, s3, v[44:45]
	v_lshlrev_b32_e32 v4, 3, v4
	buffer_store_dword v4, off, s[24:27], 0 offset:364 ; 4-byte Folded Spill
	ds_write2_b64 v4, v[46:47], v[50:51] offset1:1
	ds_write_b64 v4, v[0:1] offset:16
	v_mul_u32_u24_e32 v0, 3, v207
	v_add_f32_e32 v52, v52, v58
	v_add_f32_e32 v53, v53, v59
	v_lshlrev_b32_e32 v0, 3, v0
	buffer_store_dword v0, off, s[24:27], 0 offset:336 ; 4-byte Folded Spill
	ds_write2_b64 v0, v[52:53], v[56:57] offset1:1
	ds_write_b64 v0, v[2:3] offset:16
	s_waitcnt vmcnt(0) lgkmcnt(0)
	s_barrier
	ds_read2_b64 v[4:7], v84 offset1:90
	ds_read2_b64 v[0:3], v67 offset0:52 offset1:142
	ds_read2_b64 v[72:75], v238 offset0:28 offset1:118
	;; [unrolled: 1-line block ×14, first 2 shown]
	global_load_dwordx4 v[218:221], v[80:81], off offset:48
	global_load_dwordx4 v[52:55], v[80:81], off offset:32
	;; [unrolled: 1-line block ×3, first 2 shown]
	global_load_dwordx4 v[76:79], v[80:81], off
	v_mov_b32_e32 v48, v66
	v_mov_b32_e32 v86, v64
	;; [unrolled: 1-line block ×3, first 2 shown]
	v_mul_u32_u24_e32 v82, 30, v82
	v_add_lshl_u32 v82, v82, v83, 3
	s_waitcnt vmcnt(3) lgkmcnt(7)
	v_mul_f32_e32 v56, v18, v219
	v_fmac_f32_e32 v56, v19, v218
	s_waitcnt vmcnt(1)
	v_mul_f32_e32 v67, v88, v63
	s_waitcnt vmcnt(0)
	v_mul_f32_e32 v46, v3, v77
	v_fma_f32 v46, v2, v76, -v46
	v_mul_f32_e32 v2, v2, v77
	v_fmac_f32_e32 v2, v3, v76
	v_mul_f32_e32 v3, v73, v79
	v_fma_f32 v70, v72, v78, -v3
	v_mul_f32_e32 v3, v35, v61
	v_fma_f32 v58, v34, v60, -v3
	;; [unrolled: 2-line block ×4, first 2 shown]
	v_mul_f32_e32 v3, v93, v55
	v_mul_f32_e32 v66, v72, v79
	v_fma_f32 v72, v92, v54, -v3
	v_mul_f32_e32 v3, v19, v219
	v_fma_f32 v64, v18, v218, -v3
	global_load_dwordx2 v[18:19], v[80:81], off offset:64
	s_waitcnt vmcnt(0)
	buffer_store_dword v18, off, s[24:27], 0 offset:420 ; 4-byte Folded Spill
	s_nop 0
	buffer_store_dword v19, off, s[24:27], 0 offset:424 ; 4-byte Folded Spill
	s_waitcnt lgkmcnt(6)
	v_mul_f32_e32 v3, v99, v221
	v_fmac_f32_e32 v66, v73, v78
	v_fma_f32 v73, v98, v220, -v3
	v_fmac_f32_e32 v67, v89, v62
	v_mul_f32_e32 v69, v98, v221
	v_fmac_f32_e32 v69, v99, v220
	v_mul_f32_e32 v34, v34, v61
	;; [unrolled: 2-line block ×4, first 2 shown]
	v_fmac_f32_e32 v68, v93, v54
	s_waitcnt lgkmcnt(5)
	v_mul_f32_e32 v3, v15, v19
	v_fma_f32 v65, v14, v18, -v3
	v_mul_lo_u16_sdwa v3, v156, s6 dst_sel:DWORD dst_unused:UNUSED_PAD src0_sel:BYTE_0 src1_sel:DWORD
	v_lshrrev_b16_e32 v80, 9, v3
	v_mul_lo_u16_e32 v3, 3, v80
	v_sub_u16_e32 v3, v156, v3
	v_and_b32_e32 v81, 0xff, v3
	v_mad_u64_u32 v[88:89], s[4:5], v81, s3, v[44:45]
	global_load_dwordx4 v[96:99], v[88:89], off offset:48
	global_load_dwordx4 v[104:107], v[88:89], off offset:32
	;; [unrolled: 1-line block ×3, first 2 shown]
	global_load_dwordx4 v[112:115], v[88:89], off
	v_mul_f32_e32 v57, v14, v19
	v_fmac_f32_e32 v57, v15, v18
	s_mov_b32 s4, 0xaaab
	s_movk_i32 s6, 0x89
	s_waitcnt vmcnt(2)
	v_mul_f32_e32 v19, v95, v107
	s_waitcnt vmcnt(1)
	v_mul_f32_e32 v18, v91, v111
	s_waitcnt vmcnt(0) lgkmcnt(4)
	v_mul_f32_e32 v14, v40, v113
	v_mul_f32_e32 v15, v75, v115
	;; [unrolled: 1-line block ×4, first 2 shown]
	v_fmac_f32_e32 v14, v41, v112
	v_fma_f32 v41, v74, v114, -v15
	v_fmac_f32_e32 v35, v75, v114
	global_load_dwordx2 v[74:75], v[88:89], off offset:64
	s_waitcnt vmcnt(0)
	buffer_store_dword v74, off, s[24:27], 0 offset:376 ; 4-byte Folded Spill
	s_nop 0
	buffer_store_dword v75, off, s[24:27], 0 offset:380 ; 4-byte Folded Spill
	s_waitcnt lgkmcnt(3)
	v_mul_f32_e32 v15, v37, v109
	v_fma_f32 v26, v36, v108, -v15
	v_mul_f32_e32 v15, v36, v109
	v_fma_f32 v118, v90, v110, -v18
	s_waitcnt lgkmcnt(2)
	v_mul_f32_e32 v18, v29, v105
	v_fma_f32 v120, v94, v106, -v19
	s_waitcnt lgkmcnt(1)
	v_mul_f32_e32 v19, v21, v97
	v_fma_f32 v27, v28, v104, -v18
	v_mul_f32_e32 v18, v28, v105
	v_fma_f32 v28, v20, v96, -v19
	v_mul_f32_e32 v19, v20, v97
	v_mul_f32_e32 v20, v101, v99
	v_fma_f32 v3, v40, v112, -v3
	v_fmac_f32_e32 v15, v37, v108
	v_mul_f32_e32 v40, v90, v111
	v_fmac_f32_e32 v18, v29, v104
	v_mul_f32_e32 v29, v94, v107
	v_fmac_f32_e32 v19, v21, v96
	v_fma_f32 v21, v100, v98, -v20
	v_mul_f32_e32 v20, v100, v99
	v_fmac_f32_e32 v40, v91, v110
	v_fmac_f32_e32 v29, v95, v106
	;; [unrolled: 1-line block ×3, first 2 shown]
	s_waitcnt lgkmcnt(0)
	v_mul_f32_e32 v36, v9, v75
	v_fma_f32 v129, v8, v74, -v36
	v_mul_f32_e32 v124, v8, v75
	v_mul_u32_u24_sdwa v8, v157, s4 dst_sel:DWORD dst_unused:UNUSED_PAD src0_sel:WORD_0 src1_sel:DWORD
	v_fmac_f32_e32 v124, v9, v74
	v_lshrrev_b32_e32 v74, 17, v8
	v_mul_lo_u16_e32 v8, 3, v74
	v_sub_u16_e32 v75, v157, v8
	v_mul_lo_u16_e32 v8, 0x48, v75
	v_add_co_u32_e32 v36, vcc, s10, v8
	v_addc_co_u32_e32 v37, vcc, 0, v206, vcc
	global_load_dwordx4 v[214:217], v[36:37], off offset:48
	global_load_dwordx4 v[88:91], v[36:37], off offset:32
	;; [unrolled: 1-line block ×3, first 2 shown]
	global_load_dwordx4 v[100:103], v[36:37], off
	s_waitcnt vmcnt(2)
	v_mul_f32_e32 v125, v16, v91
	s_waitcnt vmcnt(1)
	v_mul_f32_e32 v123, v24, v95
	;; [unrolled: 2-line block ×3, first 2 shown]
	v_fma_f32 v8, v42, v100, -v8
	v_mul_f32_e32 v9, v42, v101
	v_mul_f32_e32 v42, v33, v103
	v_fma_f32 v126, v32, v102, -v42
	v_mul_f32_e32 v122, v32, v103
	v_mul_f32_e32 v32, v39, v93
	v_fma_f32 v119, v38, v92, -v32
	v_mul_f32_e32 v32, v25, v95
	v_fma_f32 v127, v24, v94, -v32
	v_mul_f32_e32 v24, v31, v89
	v_fma_f32 v121, v30, v88, -v24
	v_mul_f32_e32 v24, v17, v91
	v_fma_f32 v128, v16, v90, -v24
	v_mul_f32_e32 v16, v23, v215
	v_fmac_f32_e32 v125, v17, v90
	v_fma_f32 v17, v22, v214, -v16
	v_mul_f32_e32 v16, v22, v215
	v_mul_f32_e32 v22, v13, v217
	v_fmac_f32_e32 v16, v23, v214
	v_fma_f32 v130, v12, v216, -v22
	global_load_dwordx2 v[22:23], v[36:37], off offset:64
	v_mul_f32_e32 v12, v12, v217
	v_fmac_f32_e32 v12, v13, v216
	v_mul_f32_e32 v117, v30, v89
	v_fmac_f32_e32 v123, v25, v94
	v_fmac_f32_e32 v117, v31, v88
	v_sub_f32_e32 v25, v67, v68
	v_sub_f32_e32 v30, v70, v71
	v_sub_f32_e32 v31, v73, v72
	v_add_f32_e32 v30, v30, v31
	v_sub_f32_e32 v31, v71, v70
	v_sub_f32_e32 v32, v72, v73
	v_add_f32_e32 v31, v31, v32
	v_fmac_f32_e32 v122, v33, v102
	v_sub_f32_e32 v33, v71, v72
	v_sub_f32_e32 v36, v66, v67
	;; [unrolled: 1-line block ×3, first 2 shown]
	v_add_f32_e32 v36, v36, v37
	v_mul_f32_e32 v116, v38, v93
	v_sub_f32_e32 v37, v68, v69
	v_fmac_f32_e32 v9, v43, v100
	v_fmac_f32_e32 v116, v39, v92
	v_sub_f32_e32 v39, v47, v56
	v_sub_f32_e32 v42, v58, v59
	;; [unrolled: 1-line block ×3, first 2 shown]
	v_add_f32_e32 v42, v42, v43
	v_sub_f32_e32 v43, v59, v58
	s_waitcnt vmcnt(0)
	v_mul_f32_e32 v13, v11, v23
	v_fma_f32 v13, v10, v22, -v13
	buffer_store_dword v22, off, s[24:27], 0 offset:428 ; 4-byte Folded Spill
	s_nop 0
	buffer_store_dword v23, off, s[24:27], 0 offset:432 ; 4-byte Folded Spill
	s_waitcnt vmcnt(0)
	s_barrier
	buffer_store_dword v82, off, s[24:27], 0 offset:316 ; 4-byte Folded Spill
	v_mul_f32_e32 v10, v10, v23
	v_fmac_f32_e32 v10, v11, v22
	v_add_f32_e32 v22, v71, v72
	v_fma_f32 v22, -0.5, v22, v4
	v_sub_f32_e32 v23, v66, v69
	v_mov_b32_e32 v24, v22
	v_fmac_f32_e32 v24, 0x3f737871, v23
	v_fmac_f32_e32 v22, 0xbf737871, v23
	;; [unrolled: 1-line block ×6, first 2 shown]
	v_add_f32_e32 v30, v70, v73
	v_add_f32_e32 v11, v4, v70
	v_fma_f32 v4, -0.5, v30, v4
	v_mov_b32_e32 v30, v4
	v_fmac_f32_e32 v30, 0xbf737871, v25
	v_fmac_f32_e32 v4, 0x3f737871, v25
	v_add_f32_e32 v25, v67, v68
	v_fmac_f32_e32 v30, 0x3f167918, v23
	v_fmac_f32_e32 v4, 0xbf167918, v23
	v_fma_f32 v25, -0.5, v25, v5
	v_fmac_f32_e32 v30, 0x3e9e377a, v31
	v_fmac_f32_e32 v4, 0x3e9e377a, v31
	v_sub_f32_e32 v31, v70, v73
	v_mov_b32_e32 v32, v25
	v_fmac_f32_e32 v32, 0xbf737871, v31
	v_fmac_f32_e32 v25, 0x3f737871, v31
	;; [unrolled: 1-line block ×6, first 2 shown]
	v_add_f32_e32 v36, v66, v69
	v_add_f32_e32 v23, v5, v66
	v_fma_f32 v5, -0.5, v36, v5
	v_mov_b32_e32 v38, v5
	v_fmac_f32_e32 v38, 0x3f737871, v33
	v_sub_f32_e32 v36, v67, v66
	v_fmac_f32_e32 v5, 0xbf737871, v33
	v_add_f32_e32 v33, v59, v64
	v_fmac_f32_e32 v38, 0xbf167918, v31
	v_add_f32_e32 v36, v36, v37
	v_fmac_f32_e32 v5, 0x3f167918, v31
	v_fma_f32 v33, -0.5, v33, v46
	v_fmac_f32_e32 v38, 0x3e9e377a, v36
	v_fmac_f32_e32 v5, 0x3e9e377a, v36
	v_sub_f32_e32 v36, v34, v57
	v_mov_b32_e32 v37, v33
	v_fmac_f32_e32 v37, 0x3f737871, v36
	v_fmac_f32_e32 v33, 0xbf737871, v36
	;; [unrolled: 1-line block ×6, first 2 shown]
	v_add_f32_e32 v42, v58, v65
	v_add_f32_e32 v31, v46, v58
	v_fmac_f32_e32 v46, -0.5, v42
	v_mov_b32_e32 v42, v46
	v_fmac_f32_e32 v42, 0xbf737871, v39
	v_fmac_f32_e32 v46, 0x3f737871, v39
	;; [unrolled: 1-line block ×4, first 2 shown]
	v_add_f32_e32 v36, v2, v34
	v_add_f32_e32 v36, v36, v47
	v_sub_f32_e32 v66, v64, v65
	v_add_f32_e32 v36, v36, v56
	v_add_f32_e32 v43, v43, v66
	;; [unrolled: 1-line block ×5, first 2 shown]
	v_fmac_f32_e32 v42, 0x3e9e377a, v43
	v_fmac_f32_e32 v46, 0x3e9e377a, v43
	v_fma_f32 v43, -0.5, v36, v2
	v_add_f32_e32 v31, v31, v64
	v_sub_f32_e32 v36, v58, v65
	v_mov_b32_e32 v58, v43
	v_add_f32_e32 v31, v31, v65
	v_fmac_f32_e32 v58, 0xbf737871, v36
	v_sub_f32_e32 v59, v59, v64
	v_sub_f32_e32 v64, v34, v47
	;; [unrolled: 1-line block ×3, first 2 shown]
	v_fmac_f32_e32 v43, 0x3f737871, v36
	v_fmac_f32_e32 v58, 0xbf167918, v59
	v_add_f32_e32 v64, v64, v65
	v_fmac_f32_e32 v43, 0x3f167918, v59
	v_fmac_f32_e32 v58, 0x3e9e377a, v64
	v_fmac_f32_e32 v43, 0x3e9e377a, v64
	v_add_f32_e32 v64, v34, v57
	v_fmac_f32_e32 v2, -0.5, v64
	v_mov_b32_e32 v65, v2
	v_fmac_f32_e32 v65, 0x3f737871, v59
	v_sub_f32_e32 v34, v47, v34
	v_sub_f32_e32 v47, v56, v57
	v_fmac_f32_e32 v2, 0xbf737871, v59
	v_fmac_f32_e32 v65, 0xbf167918, v36
	v_add_f32_e32 v34, v34, v47
	v_fmac_f32_e32 v2, 0x3f167918, v36
	v_fmac_f32_e32 v65, 0x3e9e377a, v34
	;; [unrolled: 1-line block ×3, first 2 shown]
	v_mul_f32_e32 v57, 0xbe9e377a, v46
	v_add_f32_e32 v11, v11, v71
	v_add_f32_e32 v23, v23, v67
	v_mul_f32_e32 v47, 0x3f737871, v65
	v_fmac_f32_e32 v57, 0x3f737871, v2
	v_add_f32_e32 v11, v11, v72
	v_add_f32_e32 v23, v23, v68
	v_fmac_f32_e32 v47, 0x3e9e377a, v42
	v_add_f32_e32 v68, v4, v57
	v_mul_f32_e32 v132, 0xbf737871, v42
	v_mul_f32_e32 v2, 0xbe9e377a, v2
	v_sub_f32_e32 v42, v4, v57
	v_add_f32_e32 v4, v118, v120
	v_add_f32_e32 v11, v11, v73
	v_mul_f32_e32 v34, 0x3f167918, v58
	v_mul_f32_e32 v59, 0xbf4f1bbd, v33
	v_fmac_f32_e32 v2, 0xbf737871, v46
	v_fma_f32 v4, -0.5, v4, v6
	v_add_f32_e32 v23, v23, v69
	v_add_f32_e32 v70, v11, v31
	v_fmac_f32_e32 v34, 0x3f4f1bbd, v37
	v_fmac_f32_e32 v59, 0x3f167918, v43
	v_add_f32_e32 v69, v5, v2
	v_mul_f32_e32 v133, 0xbf4f1bbd, v43
	v_sub_f32_e32 v66, v11, v31
	v_sub_f32_e32 v43, v5, v2
	;; [unrolled: 1-line block ×3, first 2 shown]
	v_mov_b32_e32 v11, v4
	v_add_f32_e32 v72, v24, v34
	v_add_f32_e32 v36, v22, v59
	;; [unrolled: 1-line block ×3, first 2 shown]
	v_sub_f32_e32 v56, v24, v34
	v_sub_f32_e32 v46, v22, v59
	;; [unrolled: 1-line block ×3, first 2 shown]
	v_fmac_f32_e32 v11, 0x3f737871, v5
	v_sub_f32_e32 v22, v40, v29
	v_sub_f32_e32 v23, v41, v118
	;; [unrolled: 1-line block ×3, first 2 shown]
	v_fmac_f32_e32 v4, 0xbf737871, v5
	v_fmac_f32_e32 v11, 0x3f167918, v22
	v_add_f32_e32 v23, v23, v24
	v_fmac_f32_e32 v4, 0xbf167918, v22
	v_fmac_f32_e32 v11, 0x3e9e377a, v23
	;; [unrolled: 1-line block ×3, first 2 shown]
	v_add_f32_e32 v23, v41, v21
	v_add_f32_e32 v2, v6, v41
	v_fma_f32 v6, -0.5, v23, v6
	v_mul_f32_e32 v131, 0xbf167918, v37
	v_mov_b32_e32 v23, v6
	v_fmac_f32_e32 v131, 0x3f4f1bbd, v58
	v_fmac_f32_e32 v133, 0xbf167918, v33
	v_add_f32_e32 v2, v2, v118
	v_fmac_f32_e32 v23, 0xbf737871, v22
	v_fmac_f32_e32 v6, 0x3f737871, v22
	v_add_f32_e32 v22, v40, v29
	v_add_f32_e32 v64, v30, v47
	;; [unrolled: 1-line block ×3, first 2 shown]
	v_fmac_f32_e32 v132, 0x3e9e377a, v65
	v_add_f32_e32 v37, v25, v133
	v_sub_f32_e32 v58, v30, v47
	v_sub_f32_e32 v57, v32, v131
	;; [unrolled: 1-line block ×3, first 2 shown]
	v_add_f32_e32 v2, v2, v120
	v_sub_f32_e32 v24, v118, v41
	v_sub_f32_e32 v25, v120, v21
	v_fma_f32 v131, -0.5, v22, v7
	v_add_f32_e32 v65, v38, v132
	v_sub_f32_e32 v59, v38, v132
	v_add_f32_e32 v2, v2, v21
	v_fmac_f32_e32 v23, 0x3f167918, v5
	v_add_f32_e32 v24, v24, v25
	v_fmac_f32_e32 v6, 0xbf167918, v5
	v_sub_f32_e32 v21, v41, v21
	v_mov_b32_e32 v132, v131
	v_fmac_f32_e32 v23, 0x3e9e377a, v24
	v_fmac_f32_e32 v6, 0x3e9e377a, v24
	;; [unrolled: 1-line block ×3, first 2 shown]
	v_sub_f32_e32 v22, v118, v120
	v_sub_f32_e32 v24, v35, v40
	;; [unrolled: 1-line block ×3, first 2 shown]
	v_fmac_f32_e32 v131, 0x3f737871, v21
	v_fmac_f32_e32 v132, 0xbf167918, v22
	v_add_f32_e32 v24, v24, v25
	v_fmac_f32_e32 v131, 0x3f167918, v22
	v_fmac_f32_e32 v132, 0x3e9e377a, v24
	;; [unrolled: 1-line block ×3, first 2 shown]
	v_add_f32_e32 v24, v35, v20
	v_add_f32_e32 v5, v7, v35
	v_fmac_f32_e32 v7, -0.5, v24
	v_mov_b32_e32 v118, v7
	v_fmac_f32_e32 v118, 0x3f737871, v22
	v_fmac_f32_e32 v7, 0xbf737871, v22
	v_add_f32_e32 v5, v5, v40
	v_fmac_f32_e32 v118, 0xbf167918, v21
	v_fmac_f32_e32 v7, 0x3f167918, v21
	v_add_f32_e32 v21, v27, v28
	v_add_f32_e32 v5, v5, v29
	v_fma_f32 v21, -0.5, v21, v3
	v_add_f32_e32 v5, v5, v20
	v_sub_f32_e32 v24, v40, v35
	v_sub_f32_e32 v20, v29, v20
	;; [unrolled: 1-line block ×3, first 2 shown]
	v_mov_b32_e32 v25, v21
	v_add_f32_e32 v20, v24, v20
	v_fmac_f32_e32 v25, 0x3f737871, v22
	v_sub_f32_e32 v24, v18, v19
	v_sub_f32_e32 v29, v26, v27
	;; [unrolled: 1-line block ×3, first 2 shown]
	v_fmac_f32_e32 v21, 0xbf737871, v22
	v_fmac_f32_e32 v25, 0x3f167918, v24
	v_add_f32_e32 v29, v29, v30
	v_fmac_f32_e32 v21, 0xbf167918, v24
	v_fmac_f32_e32 v25, 0x3e9e377a, v29
	;; [unrolled: 1-line block ×3, first 2 shown]
	v_add_f32_e32 v29, v26, v129
	v_fmac_f32_e32 v118, 0x3e9e377a, v20
	v_fmac_f32_e32 v7, 0x3e9e377a, v20
	v_add_f32_e32 v20, v3, v26
	v_fmac_f32_e32 v3, -0.5, v29
	v_mov_b32_e32 v29, v3
	v_fmac_f32_e32 v29, 0xbf737871, v24
	v_fmac_f32_e32 v3, 0x3f737871, v24
	;; [unrolled: 1-line block ×4, first 2 shown]
	v_add_f32_e32 v22, v14, v15
	v_add_f32_e32 v22, v22, v18
	v_sub_f32_e32 v30, v27, v26
	v_sub_f32_e32 v31, v28, v129
	v_add_f32_e32 v22, v22, v19
	v_add_f32_e32 v30, v30, v31
	;; [unrolled: 1-line block ×4, first 2 shown]
	v_fma_f32 v22, -0.5, v22, v14
	v_add_f32_e32 v20, v20, v27
	v_sub_f32_e32 v24, v26, v129
	v_mov_b32_e32 v26, v22
	v_add_f32_e32 v20, v20, v28
	v_fmac_f32_e32 v29, 0x3e9e377a, v30
	v_fmac_f32_e32 v3, 0x3e9e377a, v30
	;; [unrolled: 1-line block ×3, first 2 shown]
	v_sub_f32_e32 v27, v27, v28
	v_sub_f32_e32 v28, v15, v18
	;; [unrolled: 1-line block ×3, first 2 shown]
	v_fmac_f32_e32 v22, 0x3f737871, v24
	v_fmac_f32_e32 v26, 0xbf167918, v27
	v_add_f32_e32 v28, v28, v30
	v_fmac_f32_e32 v22, 0x3f167918, v27
	v_fmac_f32_e32 v26, 0x3e9e377a, v28
	;; [unrolled: 1-line block ×3, first 2 shown]
	v_add_f32_e32 v28, v15, v124
	v_fmac_f32_e32 v14, -0.5, v28
	v_mov_b32_e32 v28, v14
	v_sub_f32_e32 v15, v18, v15
	v_sub_f32_e32 v18, v19, v124
	v_fmac_f32_e32 v14, 0xbf737871, v27
	v_fmac_f32_e32 v28, 0x3f737871, v27
	v_add_f32_e32 v15, v15, v18
	v_fmac_f32_e32 v14, 0x3f167918, v24
	v_fmac_f32_e32 v28, 0xbf167918, v24
	;; [unrolled: 1-line block ×3, first 2 shown]
	v_mul_f32_e32 v19, 0xbe9e377a, v3
	v_fmac_f32_e32 v28, 0x3e9e377a, v15
	v_fmac_f32_e32 v19, 0x3f737871, v14
	v_mul_f32_e32 v14, 0xbe9e377a, v14
	v_mul_f32_e32 v18, 0x3f737871, v28
	v_fmac_f32_e32 v14, 0xbf737871, v3
	v_mul_f32_e32 v3, 0xbf4f1bbd, v22
	v_mul_f32_e32 v15, 0x3f167918, v26
	v_fmac_f32_e32 v18, 0x3e9e377a, v29
	v_mul_f32_e32 v29, 0xbf737871, v29
	v_fmac_f32_e32 v3, 0xbf167918, v21
	v_fmac_f32_e32 v15, 0x3f4f1bbd, v25
	v_add_f32_e32 v32, v23, v18
	v_mul_f32_e32 v27, 0xbf4f1bbd, v21
	v_mul_f32_e32 v120, 0xbf167918, v25
	v_fmac_f32_e32 v29, 0x3e9e377a, v28
	v_add_f32_e32 v25, v131, v3
	v_sub_f32_e32 v28, v23, v18
	v_sub_f32_e32 v23, v131, v3
	v_add_f32_e32 v3, v127, v128
	v_add_f32_e32 v20, v20, v129
	v_fmac_f32_e32 v27, 0x3f167918, v22
	v_fma_f32 v3, -0.5, v3, v0
	v_add_f32_e32 v38, v2, v20
	v_add_f32_e32 v34, v6, v19
	;; [unrolled: 1-line block ×3, first 2 shown]
	v_sub_f32_e32 v30, v2, v20
	v_sub_f32_e32 v20, v6, v19
	;; [unrolled: 1-line block ×4, first 2 shown]
	v_mov_b32_e32 v6, v3
	v_add_f32_e32 v40, v11, v15
	v_add_f32_e32 v39, v5, v31
	v_fmac_f32_e32 v120, 0x3f4f1bbd, v26
	v_add_f32_e32 v35, v7, v14
	v_sub_f32_e32 v26, v11, v15
	v_sub_f32_e32 v31, v5, v31
	;; [unrolled: 1-line block ×3, first 2 shown]
	v_fmac_f32_e32 v6, 0x3f737871, v4
	v_sub_f32_e32 v5, v123, v125
	v_sub_f32_e32 v7, v126, v127
	;; [unrolled: 1-line block ×3, first 2 shown]
	v_fmac_f32_e32 v3, 0xbf737871, v4
	v_fmac_f32_e32 v6, 0x3f167918, v5
	v_add_f32_e32 v7, v7, v11
	v_fmac_f32_e32 v3, 0xbf167918, v5
	v_fmac_f32_e32 v6, 0x3e9e377a, v7
	;; [unrolled: 1-line block ×3, first 2 shown]
	v_add_f32_e32 v7, v126, v130
	v_add_f32_e32 v2, v0, v126
	v_fma_f32 v0, -0.5, v7, v0
	v_mov_b32_e32 v7, v0
	v_fmac_f32_e32 v7, 0xbf737871, v5
	v_fmac_f32_e32 v0, 0x3f737871, v5
	;; [unrolled: 1-line block ×4, first 2 shown]
	v_add_f32_e32 v4, v1, v122
	v_sub_f32_e32 v11, v127, v126
	v_sub_f32_e32 v14, v128, v130
	v_add_f32_e32 v4, v4, v123
	v_add_f32_e32 v11, v11, v14
	;; [unrolled: 1-line block ×3, first 2 shown]
	v_fmac_f32_e32 v7, 0x3e9e377a, v11
	v_fmac_f32_e32 v0, 0x3e9e377a, v11
	v_add_f32_e32 v11, v4, v12
	v_add_f32_e32 v4, v123, v125
	;; [unrolled: 1-line block ×3, first 2 shown]
	v_sub_f32_e32 v29, v118, v29
	v_fma_f32 v118, -0.5, v4, v1
	v_add_f32_e32 v41, v132, v120
	v_sub_f32_e32 v27, v132, v120
	v_sub_f32_e32 v4, v126, v130
	v_mov_b32_e32 v120, v118
	v_fmac_f32_e32 v120, 0xbf737871, v4
	v_sub_f32_e32 v5, v127, v128
	v_sub_f32_e32 v14, v122, v123
	;; [unrolled: 1-line block ×3, first 2 shown]
	v_fmac_f32_e32 v118, 0x3f737871, v4
	v_fmac_f32_e32 v120, 0xbf167918, v5
	v_add_f32_e32 v14, v14, v15
	v_fmac_f32_e32 v118, 0x3f167918, v5
	v_fmac_f32_e32 v120, 0x3e9e377a, v14
	;; [unrolled: 1-line block ×3, first 2 shown]
	v_add_f32_e32 v14, v122, v12
	v_fmac_f32_e32 v1, -0.5, v14
	v_mov_b32_e32 v124, v1
	v_fmac_f32_e32 v124, 0x3f737871, v5
	v_fmac_f32_e32 v1, 0xbf737871, v5
	;; [unrolled: 1-line block ×4, first 2 shown]
	v_add_f32_e32 v4, v8, v119
	v_add_f32_e32 v4, v4, v121
	;; [unrolled: 1-line block ×3, first 2 shown]
	v_sub_f32_e32 v14, v123, v122
	v_add_f32_e32 v122, v4, v13
	v_add_f32_e32 v4, v121, v17
	v_sub_f32_e32 v12, v125, v12
	v_fma_f32 v5, -0.5, v4, v8
	v_add_f32_e32 v12, v14, v12
	v_sub_f32_e32 v4, v116, v10
	v_mov_b32_e32 v15, v5
	v_fmac_f32_e32 v124, 0x3e9e377a, v12
	v_fmac_f32_e32 v1, 0x3e9e377a, v12
	;; [unrolled: 1-line block ×3, first 2 shown]
	v_sub_f32_e32 v12, v117, v16
	v_sub_f32_e32 v14, v119, v121
	;; [unrolled: 1-line block ×3, first 2 shown]
	v_fmac_f32_e32 v5, 0xbf737871, v4
	v_fmac_f32_e32 v15, 0x3f167918, v12
	v_add_f32_e32 v14, v14, v18
	v_fmac_f32_e32 v5, 0xbf167918, v12
	v_fmac_f32_e32 v15, 0x3e9e377a, v14
	;; [unrolled: 1-line block ×3, first 2 shown]
	v_add_f32_e32 v14, v119, v13
	v_fmac_f32_e32 v8, -0.5, v14
	v_mov_b32_e32 v123, v8
	v_fmac_f32_e32 v123, 0xbf737871, v12
	v_fmac_f32_e32 v8, 0x3f737871, v12
	;; [unrolled: 1-line block ×4, first 2 shown]
	v_add_f32_e32 v4, v9, v116
	v_add_f32_e32 v4, v4, v117
	;; [unrolled: 1-line block ×5, first 2 shown]
	v_sub_f32_e32 v14, v121, v119
	v_sub_f32_e32 v18, v17, v13
	v_fma_f32 v126, -0.5, v4, v9
	v_add_f32_e32 v14, v14, v18
	v_sub_f32_e32 v4, v119, v13
	v_mov_b32_e32 v13, v126
	v_fmac_f32_e32 v123, 0x3e9e377a, v14
	v_fmac_f32_e32 v8, 0x3e9e377a, v14
	;; [unrolled: 1-line block ×3, first 2 shown]
	v_sub_f32_e32 v12, v121, v17
	v_sub_f32_e32 v14, v116, v117
	v_sub_f32_e32 v17, v10, v16
	v_fmac_f32_e32 v126, 0x3f737871, v4
	v_fmac_f32_e32 v13, 0xbf167918, v12
	v_add_f32_e32 v14, v14, v17
	v_fmac_f32_e32 v126, 0x3f167918, v12
	v_fmac_f32_e32 v13, 0x3e9e377a, v14
	v_fmac_f32_e32 v126, 0x3e9e377a, v14
	v_add_f32_e32 v14, v116, v10
	v_fmac_f32_e32 v9, -0.5, v14
	v_mov_b32_e32 v119, v9
	v_fmac_f32_e32 v119, 0x3f737871, v12
	v_sub_f32_e32 v14, v117, v116
	v_sub_f32_e32 v10, v16, v10
	v_fmac_f32_e32 v119, 0xbf167918, v4
	v_add_f32_e32 v10, v14, v10
	v_fmac_f32_e32 v119, 0x3e9e377a, v10
	v_fmac_f32_e32 v9, 0xbf737871, v12
	;; [unrolled: 1-line block ×3, first 2 shown]
	v_mul_f32_e32 v117, 0x3f737871, v119
	v_add_f32_e32 v2, v2, v127
	v_fmac_f32_e32 v9, 0x3e9e377a, v10
	v_fmac_f32_e32 v117, 0x3e9e377a, v123
	v_mul_f32_e32 v123, 0xbf737871, v123
	ds_write2_b64 v82, v[70:71], v[72:73] offset1:3
	ds_write2_b64 v82, v[64:65], v[68:69] offset0:6 offset1:9
	ds_write2_b64 v82, v[36:37], v[66:67] offset0:12 offset1:15
	;; [unrolled: 1-line block ×4, first 2 shown]
	v_mul_u32_u24_e32 v36, 30, v80
	v_add_f32_e32 v2, v2, v128
	v_mul_f32_e32 v116, 0x3f167918, v13
	v_mul_f32_e32 v121, 0xbe9e377a, v8
	v_mul_f32_e32 v127, 0xbf4f1bbd, v5
	v_mul_f32_e32 v128, 0xbf167918, v15
	v_fmac_f32_e32 v123, 0x3e9e377a, v119
	v_mul_f32_e32 v119, 0xbe9e377a, v9
	v_add_lshl_u32 v36, v36, v81, 3
	v_add_f32_e32 v2, v2, v130
	v_fmac_f32_e32 v116, 0x3f4f1bbd, v15
	v_fmac_f32_e32 v121, 0x3f737871, v9
	;; [unrolled: 1-line block ×5, first 2 shown]
	v_mul_f32_e32 v126, 0xbf4f1bbd, v126
	ds_write2_b64 v36, v[38:39], v[40:41] offset1:3
	buffer_store_dword v36, off, s[24:27], 0 offset:312 ; 4-byte Folded Spill
	ds_write2_b64 v36, v[32:33], v[34:35] offset0:6 offset1:9
	ds_write2_b64 v36, v[24:25], v[30:31] offset0:12 offset1:15
	;; [unrolled: 1-line block ×4, first 2 shown]
	v_mad_legacy_u16 v20, v74, 30, v75
	v_add_f32_e32 v16, v2, v122
	v_add_f32_e32 v18, v6, v116
	;; [unrolled: 1-line block ×8, first 2 shown]
	v_fmac_f32_e32 v126, 0xbf167918, v5
	v_sub_f32_e32 v0, v0, v121
	v_lshlrev_b32_e32 v20, 3, v20
	v_add_f32_e32 v4, v3, v127
	v_add_f32_e32 v5, v118, v126
	v_sub_f32_e32 v10, v2, v122
	v_sub_f32_e32 v6, v6, v116
	;; [unrolled: 1-line block ×9, first 2 shown]
	ds_write2_b64 v20, v[16:17], v[18:19] offset1:3
	buffer_store_dword v20, off, s[24:27], 0 offset:296 ; 4-byte Folded Spill
	ds_write2_b64 v20, v[12:13], v[14:15] offset0:6 offset1:9
	ds_write2_b64 v20, v[4:5], v[10:11] offset0:12 offset1:15
	ds_write2_b64 v20, v[6:7], v[8:9] offset0:18 offset1:21
	ds_write2_b64 v20, v[0:1], v[2:3] offset0:24 offset1:27
	v_mul_lo_u16_sdwa v0, v173, s6 dst_sel:DWORD dst_unused:UNUSED_PAD src0_sel:BYTE_0 src1_sel:DWORD
	v_lshrrev_b16_e32 v4, 12, v0
	v_mul_lo_u16_e32 v0, 30, v4
	v_sub_u16_e32 v0, v173, v0
	v_and_b32_e32 v5, 0xff, v0
	v_mad_u64_u32 v[0:1], s[4:5], v5, s3, v[44:45]
	s_waitcnt vmcnt(0) lgkmcnt(0)
	s_barrier
	ds_read2_b64 v[64:67], v84 offset1:90
	ds_read2_b64 v[56:59], v174 offset0:52 offset1:142
	ds_read2_b64 v[8:11], v238 offset0:28 offset1:118
	;; [unrolled: 1-line block ×14, first 2 shown]
	global_load_dwordx4 v[29:32], v[0:1], off offset:264
	s_waitcnt vmcnt(0)
	buffer_store_dword v29, off, s[24:27], 0 offset:256 ; 4-byte Folded Spill
	s_nop 0
	buffer_store_dword v30, off, s[24:27], 0 offset:260 ; 4-byte Folded Spill
	buffer_store_dword v31, off, s[24:27], 0 offset:264 ; 4-byte Folded Spill
	buffer_store_dword v32, off, s[24:27], 0 offset:268 ; 4-byte Folded Spill
	global_load_dwordx4 v[33:36], v[0:1], off offset:248
	s_waitcnt vmcnt(0)
	buffer_store_dword v33, off, s[24:27], 0 offset:272 ; 4-byte Folded Spill
	s_nop 0
	buffer_store_dword v34, off, s[24:27], 0 offset:276 ; 4-byte Folded Spill
	buffer_store_dword v35, off, s[24:27], 0 offset:280 ; 4-byte Folded Spill
	buffer_store_dword v36, off, s[24:27], 0 offset:284 ; 4-byte Folded Spill
	;; [unrolled: 7-line block ×4, first 2 shown]
	s_waitcnt lgkmcnt(6)
	v_mul_f32_e32 v142, v25, v32
	v_fmac_f32_e32 v142, v26, v31
	v_mul_u32_u24_e32 v4, 0x12c, v4
	v_add_lshl_u32 v4, v4, v5, 3
	v_add_u32_e32 v5, 0x400, v4
	v_mov_b32_e32 v46, v201
	v_mov_b32_e32 v43, v202
	v_mul_f32_e32 v2, v59, v38
	v_fma_f32 v6, v58, v37, -v2
	v_mul_f32_e32 v2, v9, v40
	v_fma_f32 v143, v8, v39, -v2
	;; [unrolled: 2-line block ×4, first 2 shown]
	v_mul_f32_e32 v2, v127, v34
	v_mul_f32_e32 v18, v134, v18
	v_fma_f32 v134, v126, v33, -v2
	v_mul_f32_e32 v2, v22, v36
	v_fma_f32 v145, v21, v35, -v2
	v_mul_f32_e32 v2, v119, v30
	v_fmac_f32_e32 v18, v135, v17
	v_mul_f32_e32 v135, v12, v20
	v_mul_f32_e32 v20, v126, v34
	v_fma_f32 v126, v118, v29, -v2
	v_mul_f32_e32 v2, v26, v32
	v_fma_f32 v146, v25, v31, -v2
	global_load_dwordx2 v[1:2], v[0:1], off offset:280
	s_waitcnt vmcnt(0)
	buffer_store_dword v1, off, s[24:27], 0 offset:248 ; 4-byte Folded Spill
	s_nop 0
	buffer_store_dword v2, off, s[24:27], 0 offset:252 ; 4-byte Folded Spill
	v_fmac_f32_e32 v20, v127, v33
	v_mul_f32_e32 v127, v21, v36
	v_fmac_f32_e32 v127, v22, v35
	v_mul_f32_e32 v22, v118, v30
	v_mul_f32_e32 v7, v58, v38
	v_fmac_f32_e32 v22, v119, v29
	v_fmac_f32_e32 v7, v59, v37
	;; [unrolled: 1-line block ×3, first 2 shown]
	v_mul_f32_e32 v141, v8, v40
	v_fmac_f32_e32 v141, v9, v39
	v_sub_f32_e32 v29, v146, v145
	v_sub_f32_e32 v30, v145, v146
	;; [unrolled: 1-line block ×5, first 2 shown]
	v_add_f32_e32 v32, v32, v33
	v_sub_f32_e32 v34, v135, v141
	v_sub_f32_e32 v35, v127, v142
	v_add_f32_e32 v34, v34, v35
	v_sub_f32_e32 v36, v20, v22
	v_sub_f32_e32 v37, v140, v134
	;; [unrolled: 1-line block ×4, first 2 shown]
	s_waitcnt lgkmcnt(5)
	v_mul_f32_e32 v0, v75, v2
	v_fma_f32 v119, v74, v1, -v0
	v_mul_lo_u16_sdwa v0, v156, s6 dst_sel:DWORD dst_unused:UNUSED_PAD src0_sel:BYTE_0 src1_sel:DWORD
	v_mul_f32_e32 v59, v74, v2
	v_lshrrev_b16_e32 v2, 12, v0
	v_mul_lo_u16_e32 v0, 30, v2
	v_sub_u16_e32 v0, v156, v0
	v_and_b32_e32 v3, 0xff, v0
	v_fmac_f32_e32 v59, v75, v1
	v_mad_u64_u32 v[0:1], s[4:5], v3, s3, v[44:45]
	global_load_dwordx4 v[252:255], v[0:1], off offset:264
	global_load_dwordx4 v[234:237], v[0:1], off offset:248
	;; [unrolled: 1-line block ×4, first 2 shown]
	s_mov_b32 s3, 0x8889
	v_sub_f32_e32 v38, v119, v126
	v_add_f32_e32 v37, v37, v38
	v_sub_f32_e32 v38, v134, v140
	v_sub_f32_e32 v39, v126, v119
	v_add_f32_e32 v38, v38, v39
	v_sub_f32_e32 v42, v59, v22
	v_add_f32_e32 v41, v41, v42
	v_mul_u32_u24_e32 v2, 0x12c, v2
	v_add_lshl_u32 v2, v2, v3, 3
	v_mov_b32_e32 v42, v172
	v_mov_b32_e32 v44, v174
	s_mul_hi_u32 s6, s0, 0xffffca90
	s_sub_i32 s6, s6, s0
	s_waitcnt vmcnt(3)
	v_mul_f32_e32 v75, v27, v255
	s_waitcnt vmcnt(2)
	v_mul_f32_e32 v25, v23, v237
	v_fmac_f32_e32 v25, v24, v236
	s_waitcnt vmcnt(0)
	v_mul_f32_e32 v12, v11, v225
	v_fma_f32 v58, v10, v224, -v12
	v_mul_f32_e32 v12, v24, v237
	v_fma_f32 v118, v23, v236, -v12
	global_load_dwordx2 v[23:24], v[0:1], off offset:280
	s_waitcnt vmcnt(0)
	buffer_store_dword v23, off, s[24:27], 0 offset:288 ; 4-byte Folded Spill
	s_nop 0
	buffer_store_dword v24, off, s[24:27], 0 offset:292 ; 4-byte Folded Spill
	v_mul_f32_e32 v19, v10, v225
	v_mul_f32_e32 v21, v14, v233
	v_fmac_f32_e32 v19, v11, v224
	v_mul_f32_e32 v11, v15, v233
	v_fmac_f32_e32 v21, v15, v232
	s_waitcnt lgkmcnt(1)
	v_mul_f32_e32 v12, v81, v253
	v_mul_f32_e32 v15, v28, v255
	v_fma_f32 v16, v80, v252, -v12
	v_mul_f32_e32 v12, v80, v253
	v_fma_f32 v80, v27, v254, -v15
	v_fmac_f32_e32 v75, v28, v254
	v_fma_f32 v74, v14, v232, -v11
	v_mul_f32_e32 v9, v136, v223
	v_mul_f32_e32 v8, v137, v223
	v_fmac_f32_e32 v9, v137, v222
	v_mul_f32_e32 v11, v121, v235
	v_mul_f32_e32 v10, v129, v231
	v_fma_f32 v14, v120, v234, -v11
	v_fma_f32 v8, v136, v222, -v8
	;; [unrolled: 1-line block ×3, first 2 shown]
	v_mul_f32_e32 v10, v128, v231
	v_fmac_f32_e32 v10, v129, v230
	v_mul_f32_e32 v11, v120, v235
	v_fmac_f32_e32 v11, v121, v234
	v_fmac_f32_e32 v12, v81, v252
	s_waitcnt lgkmcnt(0)
	v_mul_f32_e32 v0, v69, v24
	v_fma_f32 v17, v68, v23, -v0
	v_mul_u32_u24_sdwa v0, v157, s3 dst_sel:DWORD dst_unused:UNUSED_PAD src0_sel:WORD_0 src1_sel:DWORD
	v_lshrrev_b32_e32 v0, 20, v0
	v_mul_lo_u16_e32 v1, 30, v0
	v_mul_f32_e32 v15, v68, v24
	v_sub_u16_e32 v1, v157, v1
	v_fmac_f32_e32 v15, v69, v23
	v_mul_lo_u16_e32 v23, 0x48, v1
	v_add_co_u32_e32 v26, vcc, s10, v23
	v_addc_co_u32_e32 v27, vcc, 0, v206, vcc
	global_load_dwordx4 v[248:251], v[26:27], off offset:264
	global_load_dwordx4 v[240:243], v[26:27], off offset:248
	;; [unrolled: 1-line block ×4, first 2 shown]
	s_movk_i32 s3, 0x12c
	v_mad_legacy_u16 v0, v0, s3, v1
	v_lshlrev_b32_e32 v0, 3, v0
	v_add_u32_e32 v1, 0x400, v0
	s_movk_i32 s3, 0xffe2
	s_waitcnt vmcnt(2)
	v_mul_f32_e32 v165, v116, v243
	s_waitcnt vmcnt(1)
	v_mul_f32_e32 v162, v124, v247
	;; [unrolled: 2-line block ×3, first 2 shown]
	v_fma_f32 v161, v132, v228, -v28
	v_mul_f32_e32 v28, v131, v245
	v_fma_f32 v69, v130, v244, -v28
	v_mul_f32_e32 v28, v125, v247
	;; [unrolled: 2-line block ×6, first 2 shown]
	v_fma_f32 v167, v72, v250, -v28
	global_load_dwordx2 v[27:28], v[26:27], off offset:280
	v_mul_f32_e32 v82, v82, v249
	v_fmac_f32_e32 v82, v83, v248
	v_mul_f32_e32 v83, v72, v251
	v_fmac_f32_e32 v83, v73, v250
	v_mul_f32_e32 v24, v138, v227
	v_mul_f32_e32 v23, v139, v227
	v_fmac_f32_e32 v24, v139, v226
	v_fma_f32 v23, v138, v226, -v23
	v_mul_f32_e32 v81, v132, v229
	v_fmac_f32_e32 v81, v133, v228
	v_mul_f32_e32 v68, v130, v245
	v_fmac_f32_e32 v68, v131, v244
	v_fmac_f32_e32 v162, v125, v246
	v_fmac_f32_e32 v165, v117, v242
	v_mul_f32_e32 v159, v122, v241
	v_fmac_f32_e32 v159, v123, v240
	s_waitcnt vmcnt(0)
	v_mul_f32_e32 v26, v71, v28
	v_fma_f32 v72, v70, v27, -v26
	buffer_store_dword v27, off, s[24:27], 0 offset:300 ; 4-byte Folded Spill
	s_nop 0
	buffer_store_dword v28, off, s[24:27], 0 offset:304 ; 4-byte Folded Spill
	v_add_f32_e32 v26, v64, v143
	v_add_f32_e32 v26, v26, v144
	;; [unrolled: 1-line block ×5, first 2 shown]
	s_waitcnt vmcnt(0)
	s_barrier
	buffer_store_dword v4, off, s[24:27], 0 offset:324 ; 4-byte Folded Spill
	v_mul_f32_e32 v70, v70, v28
	v_fmac_f32_e32 v70, v71, v27
	v_fma_f32 v71, -0.5, v26, v64
	v_sub_f32_e32 v27, v141, v142
	v_mov_b32_e32 v116, v71
	v_fmac_f32_e32 v116, 0x3f737871, v27
	v_sub_f32_e32 v28, v135, v127
	v_sub_f32_e32 v26, v143, v144
	v_fmac_f32_e32 v71, 0xbf737871, v27
	v_fmac_f32_e32 v116, 0x3f167918, v28
	v_add_f32_e32 v26, v26, v29
	v_fmac_f32_e32 v71, 0xbf167918, v28
	v_fmac_f32_e32 v116, 0x3e9e377a, v26
	;; [unrolled: 1-line block ×3, first 2 shown]
	v_add_f32_e32 v26, v143, v146
	v_fma_f32 v64, -0.5, v26, v64
	v_mov_b32_e32 v26, v64
	v_fmac_f32_e32 v26, 0xbf737871, v28
	v_fmac_f32_e32 v64, 0x3f737871, v28
	;; [unrolled: 1-line block ×4, first 2 shown]
	v_add_f32_e32 v27, v65, v141
	v_add_f32_e32 v27, v27, v135
	;; [unrolled: 1-line block ×3, first 2 shown]
	v_sub_f32_e32 v29, v144, v143
	v_add_f32_e32 v28, v27, v142
	v_add_f32_e32 v27, v135, v127
	;; [unrolled: 1-line block ×3, first 2 shown]
	v_fma_f32 v27, -0.5, v27, v65
	v_fmac_f32_e32 v26, 0x3e9e377a, v29
	v_fmac_f32_e32 v64, 0x3e9e377a, v29
	v_sub_f32_e32 v30, v143, v146
	v_mov_b32_e32 v29, v27
	v_fmac_f32_e32 v29, 0xbf737871, v30
	v_fmac_f32_e32 v27, 0x3f737871, v30
	v_fmac_f32_e32 v29, 0xbf167918, v31
	v_fmac_f32_e32 v27, 0x3f167918, v31
	v_fmac_f32_e32 v29, 0x3e9e377a, v32
	v_fmac_f32_e32 v27, 0x3e9e377a, v32
	v_add_f32_e32 v32, v141, v142
	v_fma_f32 v32, -0.5, v32, v65
	v_mov_b32_e32 v33, v32
	v_fmac_f32_e32 v33, 0x3f737871, v31
	v_fmac_f32_e32 v32, 0xbf737871, v31
	v_add_f32_e32 v31, v134, v126
	v_fmac_f32_e32 v33, 0xbf167918, v30
	v_fmac_f32_e32 v32, 0x3f167918, v30
	v_fma_f32 v31, -0.5, v31, v6
	v_fmac_f32_e32 v33, 0x3e9e377a, v34
	v_fmac_f32_e32 v32, 0x3e9e377a, v34
	v_sub_f32_e32 v34, v18, v59
	v_mov_b32_e32 v35, v31
	v_fmac_f32_e32 v35, 0x3f737871, v34
	v_fmac_f32_e32 v31, 0xbf737871, v34
	;; [unrolled: 1-line block ×6, first 2 shown]
	v_add_f32_e32 v37, v140, v119
	v_add_f32_e32 v30, v6, v140
	v_fmac_f32_e32 v6, -0.5, v37
	v_mov_b32_e32 v37, v6
	v_fmac_f32_e32 v37, 0xbf737871, v36
	v_fmac_f32_e32 v6, 0x3f737871, v36
	v_add_f32_e32 v36, v20, v22
	v_fmac_f32_e32 v37, 0x3f167918, v34
	v_fmac_f32_e32 v6, 0xbf167918, v34
	v_fma_f32 v36, -0.5, v36, v7
	v_fmac_f32_e32 v37, 0x3e9e377a, v38
	v_fmac_f32_e32 v6, 0x3e9e377a, v38
	v_sub_f32_e32 v38, v140, v119
	v_mov_b32_e32 v39, v36
	v_fmac_f32_e32 v39, 0xbf737871, v38
	v_fmac_f32_e32 v36, 0x3f737871, v38
	;; [unrolled: 1-line block ×6, first 2 shown]
	v_add_f32_e32 v41, v18, v59
	v_add_f32_e32 v34, v7, v18
	v_fmac_f32_e32 v7, -0.5, v41
	v_add_f32_e32 v34, v34, v20
	v_mov_b32_e32 v41, v7
	v_sub_f32_e32 v18, v20, v18
	v_sub_f32_e32 v20, v22, v59
	v_fmac_f32_e32 v7, 0xbf737871, v40
	v_add_f32_e32 v18, v18, v20
	v_fmac_f32_e32 v7, 0x3f167918, v38
	v_add_f32_e32 v34, v34, v22
	v_fmac_f32_e32 v41, 0x3f737871, v40
	v_fmac_f32_e32 v7, 0x3e9e377a, v18
	v_mul_f32_e32 v22, 0xbe9e377a, v6
	v_fmac_f32_e32 v41, 0xbf167918, v38
	v_fmac_f32_e32 v22, 0x3f737871, v7
	v_mul_f32_e32 v7, 0xbe9e377a, v7
	;; [unrolled: 3-line block ×3, first 2 shown]
	v_mul_f32_e32 v20, 0x3f737871, v41
	v_add_f32_e32 v151, v32, v7
	v_sub_f32_e32 v139, v32, v7
	v_add_f32_e32 v7, v74, v118
	v_fmac_f32_e32 v18, 0x3f4f1bbd, v35
	v_fmac_f32_e32 v20, 0x3e9e377a, v37
	v_mul_f32_e32 v6, 0xbf4f1bbd, v36
	v_fma_f32 v7, -0.5, v7, v66
	v_add_f32_e32 v154, v116, v18
	v_add_f32_e32 v148, v26, v20
	v_fmac_f32_e32 v6, 0xbf167918, v31
	v_sub_f32_e32 v142, v116, v18
	v_sub_f32_e32 v144, v26, v20
	;; [unrolled: 1-line block ×3, first 2 shown]
	v_mov_b32_e32 v20, v7
	v_add_f32_e32 v150, v64, v22
	v_add_f32_e32 v137, v27, v6
	v_sub_f32_e32 v138, v64, v22
	v_sub_f32_e32 v141, v27, v6
	v_fmac_f32_e32 v20, 0x3f737871, v18
	v_sub_f32_e32 v22, v21, v25
	v_sub_f32_e32 v26, v58, v74
	;; [unrolled: 1-line block ×3, first 2 shown]
	v_fmac_f32_e32 v7, 0xbf737871, v18
	v_fmac_f32_e32 v20, 0x3f167918, v22
	v_add_f32_e32 v26, v26, v27
	v_fmac_f32_e32 v7, 0xbf167918, v22
	v_fmac_f32_e32 v20, 0x3e9e377a, v26
	;; [unrolled: 1-line block ×3, first 2 shown]
	v_add_f32_e32 v26, v58, v80
	v_mul_f32_e32 v35, 0xbf167918, v35
	v_fma_f32 v26, -0.5, v26, v66
	v_add_f32_e32 v34, v34, v59
	v_fmac_f32_e32 v35, 0x3f4f1bbd, v39
	v_mov_b32_e32 v27, v26
	v_add_f32_e32 v30, v30, v134
	v_add_f32_e32 v153, v28, v34
	;; [unrolled: 1-line block ×3, first 2 shown]
	v_sub_f32_e32 v147, v28, v34
	v_sub_f32_e32 v143, v29, v35
	v_fmac_f32_e32 v27, 0xbf737871, v22
	v_sub_f32_e32 v28, v74, v58
	v_sub_f32_e32 v29, v118, v80
	v_fmac_f32_e32 v26, 0x3f737871, v22
	v_add_f32_e32 v22, v21, v25
	v_add_f32_e32 v30, v30, v126
	v_fmac_f32_e32 v27, 0x3f167918, v18
	v_add_f32_e32 v28, v28, v29
	v_fmac_f32_e32 v26, 0xbf167918, v18
	v_fma_f32 v22, -0.5, v22, v67
	v_add_f32_e32 v30, v30, v119
	v_fmac_f32_e32 v27, 0x3e9e377a, v28
	v_fmac_f32_e32 v26, 0x3e9e377a, v28
	v_sub_f32_e32 v28, v58, v80
	v_mov_b32_e32 v29, v22
	v_add_f32_e32 v152, v73, v30
	v_mul_f32_e32 v38, 0xbf4f1bbd, v31
	v_sub_f32_e32 v146, v73, v30
	v_fmac_f32_e32 v29, 0xbf737871, v28
	v_sub_f32_e32 v30, v74, v118
	v_sub_f32_e32 v31, v19, v21
	;; [unrolled: 1-line block ×3, first 2 shown]
	v_fmac_f32_e32 v22, 0x3f737871, v28
	v_fmac_f32_e32 v29, 0xbf167918, v30
	v_add_f32_e32 v31, v31, v32
	v_fmac_f32_e32 v22, 0x3f167918, v30
	v_add_f32_e32 v18, v67, v19
	v_fmac_f32_e32 v29, 0x3e9e377a, v31
	v_fmac_f32_e32 v22, 0x3e9e377a, v31
	v_add_f32_e32 v31, v19, v75
	v_add_f32_e32 v18, v18, v21
	v_fmac_f32_e32 v67, -0.5, v31
	v_sub_f32_e32 v19, v21, v19
	v_sub_f32_e32 v21, v25, v75
	v_mov_b32_e32 v31, v67
	v_add_f32_e32 v19, v19, v21
	v_add_f32_e32 v21, v14, v16
	v_mul_f32_e32 v37, 0xbf737871, v37
	v_fmac_f32_e32 v31, 0x3f737871, v30
	v_fmac_f32_e32 v67, 0xbf737871, v30
	v_fma_f32 v21, -0.5, v21, v8
	v_fmac_f32_e32 v37, 0x3e9e377a, v41
	v_add_f32_e32 v18, v18, v25
	v_fmac_f32_e32 v31, 0xbf167918, v28
	v_fmac_f32_e32 v67, 0x3f167918, v28
	v_sub_f32_e32 v25, v10, v15
	v_mov_b32_e32 v28, v21
	v_add_f32_e32 v149, v33, v37
	v_sub_f32_e32 v145, v33, v37
	v_fmac_f32_e32 v28, 0x3f737871, v25
	v_sub_f32_e32 v30, v11, v12
	v_sub_f32_e32 v32, v13, v14
	;; [unrolled: 1-line block ×3, first 2 shown]
	v_fmac_f32_e32 v21, 0xbf737871, v25
	v_fmac_f32_e32 v28, 0x3f167918, v30
	v_add_f32_e32 v32, v32, v33
	v_fmac_f32_e32 v21, 0xbf167918, v30
	v_fmac_f32_e32 v28, 0x3e9e377a, v32
	;; [unrolled: 1-line block ×3, first 2 shown]
	v_add_f32_e32 v32, v13, v17
	v_fmac_f32_e32 v31, 0x3e9e377a, v19
	v_fmac_f32_e32 v67, 0x3e9e377a, v19
	v_add_f32_e32 v19, v8, v13
	v_fmac_f32_e32 v8, -0.5, v32
	v_mov_b32_e32 v32, v8
	v_add_f32_e32 v19, v19, v14
	v_fmac_f32_e32 v32, 0xbf737871, v30
	v_fmac_f32_e32 v8, 0x3f737871, v30
	v_add_f32_e32 v30, v11, v12
	v_add_f32_e32 v19, v19, v16
	v_sub_f32_e32 v33, v14, v13
	v_sub_f32_e32 v34, v16, v17
	v_fma_f32 v30, -0.5, v30, v9
	v_add_f32_e32 v19, v19, v17
	v_fmac_f32_e32 v32, 0x3f167918, v25
	v_add_f32_e32 v33, v33, v34
	v_fmac_f32_e32 v8, 0xbf167918, v25
	v_sub_f32_e32 v13, v13, v17
	v_mov_b32_e32 v17, v30
	v_fmac_f32_e32 v32, 0x3e9e377a, v33
	v_fmac_f32_e32 v8, 0x3e9e377a, v33
	;; [unrolled: 1-line block ×3, first 2 shown]
	v_sub_f32_e32 v14, v14, v16
	v_sub_f32_e32 v16, v10, v11
	;; [unrolled: 1-line block ×3, first 2 shown]
	v_fmac_f32_e32 v30, 0x3f737871, v13
	v_fmac_f32_e32 v17, 0xbf167918, v14
	v_add_f32_e32 v16, v16, v33
	v_fmac_f32_e32 v30, 0x3f167918, v14
	v_fmac_f32_e32 v17, 0x3e9e377a, v16
	v_fmac_f32_e32 v30, 0x3e9e377a, v16
	v_add_f32_e32 v16, v10, v15
	v_add_f32_e32 v25, v9, v10
	v_fmac_f32_e32 v9, -0.5, v16
	v_add_f32_e32 v25, v25, v11
	v_mov_b32_e32 v16, v9
	v_sub_f32_e32 v10, v11, v10
	v_sub_f32_e32 v11, v12, v15
	v_fmac_f32_e32 v9, 0xbf737871, v14
	v_fmac_f32_e32 v16, 0x3f737871, v14
	v_add_f32_e32 v10, v10, v11
	v_fmac_f32_e32 v9, 0x3f167918, v13
	v_add_f32_e32 v6, v66, v58
	v_add_f32_e32 v25, v25, v12
	v_fmac_f32_e32 v16, 0xbf167918, v13
	v_fmac_f32_e32 v9, 0x3e9e377a, v10
	v_mul_f32_e32 v12, 0xbe9e377a, v8
	v_mul_f32_e32 v13, 0xbf4f1bbd, v21
	v_add_f32_e32 v6, v6, v74
	v_fmac_f32_e32 v12, 0x3f737871, v9
	v_fmac_f32_e32 v13, 0x3f167918, v30
	v_mul_f32_e32 v9, 0xbe9e377a, v9
	v_add_f32_e32 v6, v6, v118
	v_fmac_f32_e32 v16, 0x3e9e377a, v10
	v_add_f32_e32 v124, v7, v13
	v_fmac_f32_e32 v9, 0xbf737871, v8
	v_mul_f32_e32 v8, 0xbf4f1bbd, v30
	v_sub_f32_e32 v118, v7, v13
	v_add_f32_e32 v7, v163, v166
	v_mul_f32_e32 v10, 0x3f167918, v17
	v_mul_f32_e32 v11, 0x3f737871, v16
	v_fmac_f32_e32 v8, 0xbf167918, v21
	v_fma_f32 v7, -0.5, v7, v56
	v_fmac_f32_e32 v10, 0x3f4f1bbd, v28
	v_fmac_f32_e32 v11, 0x3e9e377a, v32
	v_add_f32_e32 v131, v67, v9
	v_add_f32_e32 v125, v22, v8
	v_sub_f32_e32 v117, v67, v9
	v_sub_f32_e32 v119, v22, v8
	;; [unrolled: 1-line block ×3, first 2 shown]
	v_mov_b32_e32 v9, v7
	v_add_f32_e32 v134, v20, v10
	v_add_f32_e32 v128, v27, v11
	;; [unrolled: 1-line block ×3, first 2 shown]
	v_sub_f32_e32 v120, v20, v10
	v_sub_f32_e32 v122, v27, v11
	;; [unrolled: 1-line block ×3, first 2 shown]
	v_fmac_f32_e32 v9, 0x3f737871, v8
	v_sub_f32_e32 v10, v162, v165
	v_sub_f32_e32 v11, v161, v163
	;; [unrolled: 1-line block ×3, first 2 shown]
	v_fmac_f32_e32 v7, 0xbf737871, v8
	v_fmac_f32_e32 v9, 0x3f167918, v10
	v_add_f32_e32 v11, v11, v12
	v_fmac_f32_e32 v7, 0xbf167918, v10
	v_fmac_f32_e32 v9, 0x3e9e377a, v11
	;; [unrolled: 1-line block ×3, first 2 shown]
	v_add_f32_e32 v11, v161, v167
	v_mul_f32_e32 v14, 0xbf167918, v28
	v_fma_f32 v11, -0.5, v11, v56
	v_fmac_f32_e32 v14, 0x3f4f1bbd, v17
	v_mov_b32_e32 v12, v11
	v_add_f32_e32 v135, v29, v14
	v_sub_f32_e32 v121, v29, v14
	v_fmac_f32_e32 v12, 0xbf737871, v10
	v_sub_f32_e32 v13, v163, v161
	v_sub_f32_e32 v14, v166, v167
	v_fmac_f32_e32 v11, 0x3f737871, v10
	v_add_f32_e32 v10, v162, v165
	v_add_f32_e32 v25, v25, v15
	v_mul_f32_e32 v15, 0xbf737871, v32
	v_fmac_f32_e32 v12, 0x3f167918, v8
	v_add_f32_e32 v13, v13, v14
	v_fmac_f32_e32 v11, 0xbf167918, v8
	v_fma_f32 v10, -0.5, v10, v57
	v_fmac_f32_e32 v15, 0x3e9e377a, v16
	v_fmac_f32_e32 v12, 0x3e9e377a, v13
	;; [unrolled: 1-line block ×3, first 2 shown]
	v_sub_f32_e32 v13, v161, v167
	v_mov_b32_e32 v14, v10
	v_add_f32_e32 v129, v31, v15
	v_sub_f32_e32 v123, v31, v15
	v_fmac_f32_e32 v14, 0xbf737871, v13
	v_sub_f32_e32 v15, v163, v166
	v_sub_f32_e32 v16, v81, v162
	;; [unrolled: 1-line block ×3, first 2 shown]
	v_fmac_f32_e32 v10, 0x3f737871, v13
	v_fmac_f32_e32 v14, 0xbf167918, v15
	v_add_f32_e32 v16, v16, v17
	v_fmac_f32_e32 v10, 0x3f167918, v15
	v_fmac_f32_e32 v14, 0x3e9e377a, v16
	;; [unrolled: 1-line block ×3, first 2 shown]
	v_add_f32_e32 v16, v81, v83
	v_add_f32_e32 v8, v57, v81
	v_fmac_f32_e32 v57, -0.5, v16
	v_add_f32_e32 v18, v18, v75
	v_mov_b32_e32 v16, v57
	v_add_f32_e32 v133, v18, v25
	v_sub_f32_e32 v127, v18, v25
	v_fmac_f32_e32 v16, 0x3f737871, v15
	v_sub_f32_e32 v17, v162, v81
	v_sub_f32_e32 v18, v165, v83
	v_fmac_f32_e32 v57, 0xbf737871, v15
	v_add_f32_e32 v15, v160, v164
	v_fmac_f32_e32 v16, 0xbf167918, v13
	v_add_f32_e32 v17, v17, v18
	v_fmac_f32_e32 v57, 0x3f167918, v13
	v_fma_f32 v15, -0.5, v15, v23
	v_add_f32_e32 v6, v6, v80
	v_fmac_f32_e32 v16, 0x3e9e377a, v17
	v_fmac_f32_e32 v57, 0x3e9e377a, v17
	v_sub_f32_e32 v17, v68, v70
	v_mov_b32_e32 v18, v15
	v_add_f32_e32 v132, v6, v19
	v_sub_f32_e32 v126, v6, v19
	v_fmac_f32_e32 v18, 0x3f737871, v17
	v_sub_f32_e32 v19, v159, v82
	v_sub_f32_e32 v20, v69, v160
	;; [unrolled: 1-line block ×3, first 2 shown]
	v_fmac_f32_e32 v15, 0xbf737871, v17
	v_fmac_f32_e32 v18, 0x3f167918, v19
	v_add_f32_e32 v20, v20, v21
	v_fmac_f32_e32 v15, 0xbf167918, v19
	v_fmac_f32_e32 v18, 0x3e9e377a, v20
	;; [unrolled: 1-line block ×3, first 2 shown]
	v_add_f32_e32 v20, v69, v72
	v_add_f32_e32 v13, v23, v69
	v_fmac_f32_e32 v23, -0.5, v20
	v_mov_b32_e32 v20, v23
	v_fmac_f32_e32 v20, 0xbf737871, v19
	v_sub_f32_e32 v21, v160, v69
	v_sub_f32_e32 v22, v164, v72
	v_fmac_f32_e32 v23, 0x3f737871, v19
	v_add_f32_e32 v19, v159, v82
	v_fmac_f32_e32 v20, 0x3f167918, v17
	v_add_f32_e32 v21, v21, v22
	v_fmac_f32_e32 v23, 0xbf167918, v17
	v_fma_f32 v19, -0.5, v19, v24
	v_fmac_f32_e32 v20, 0x3e9e377a, v21
	v_fmac_f32_e32 v23, 0x3e9e377a, v21
	v_sub_f32_e32 v21, v69, v72
	v_mov_b32_e32 v22, v19
	v_fmac_f32_e32 v22, 0xbf737871, v21
	v_sub_f32_e32 v25, v160, v164
	v_sub_f32_e32 v26, v68, v159
	;; [unrolled: 1-line block ×3, first 2 shown]
	v_fmac_f32_e32 v19, 0x3f737871, v21
	v_fmac_f32_e32 v22, 0xbf167918, v25
	v_add_f32_e32 v26, v26, v27
	v_fmac_f32_e32 v19, 0x3f167918, v25
	v_fmac_f32_e32 v22, 0x3e9e377a, v26
	;; [unrolled: 1-line block ×3, first 2 shown]
	v_add_f32_e32 v26, v68, v70
	v_add_f32_e32 v17, v24, v68
	v_fmac_f32_e32 v24, -0.5, v26
	v_mov_b32_e32 v26, v24
	v_fmac_f32_e32 v26, 0x3f737871, v25
	v_sub_f32_e32 v27, v159, v68
	v_sub_f32_e32 v28, v82, v70
	v_fmac_f32_e32 v26, 0xbf167918, v21
	v_add_f32_e32 v27, v27, v28
	v_fmac_f32_e32 v24, 0xbf737871, v25
	v_add_f32_e32 v6, v56, v161
	v_fmac_f32_e32 v26, 0x3e9e377a, v27
	v_fmac_f32_e32 v24, 0x3f167918, v21
	v_mul_f32_e32 v21, 0x3f167918, v22
	v_add_f32_e32 v6, v6, v163
	v_add_f32_e32 v8, v8, v162
	;; [unrolled: 1-line block ×4, first 2 shown]
	v_fmac_f32_e32 v24, 0x3e9e377a, v27
	v_fmac_f32_e32 v21, 0x3f4f1bbd, v18
	v_mul_f32_e32 v25, 0x3f737871, v26
	v_mul_f32_e32 v28, 0xbf4f1bbd, v15
	;; [unrolled: 1-line block ×3, first 2 shown]
	v_fmac_f32_e32 v38, 0x3f167918, v36
	v_add_f32_e32 v6, v6, v166
	v_add_f32_e32 v8, v8, v165
	;; [unrolled: 1-line block ×4, first 2 shown]
	v_fmac_f32_e32 v25, 0x3e9e377a, v20
	v_mul_f32_e32 v27, 0xbe9e377a, v23
	v_fmac_f32_e32 v28, 0x3f167918, v19
	v_fmac_f32_e32 v18, 0x3f4f1bbd, v22
	v_mul_f32_e32 v20, 0xbf737871, v20
	v_mul_f32_e32 v22, 0xbe9e377a, v24
	;; [unrolled: 1-line block ×3, first 2 shown]
	v_sub_f32_e32 v140, v71, v38
	v_add_f32_e32 v6, v6, v167
	v_add_f32_e32 v8, v8, v83
	;; [unrolled: 1-line block ×4, first 2 shown]
	v_fmac_f32_e32 v27, 0x3f737871, v24
	v_fmac_f32_e32 v20, 0x3e9e377a, v26
	;; [unrolled: 1-line block ×4, first 2 shown]
	v_add_f32_e32 v136, v71, v38
	v_add_f32_e32 v80, v6, v13
	;; [unrolled: 1-line block ×9, first 2 shown]
	v_sub_f32_e32 v56, v11, v27
	v_sub_f32_e32 v58, v7, v28
	;; [unrolled: 1-line block ×5, first 2 shown]
	ds_write2_b64 v4, v[152:153], v[154:155] offset1:30
	ds_write2_b64 v4, v[148:149], v[150:151] offset0:60 offset1:90
	ds_write2_b64 v4, v[136:137], v[146:147] offset0:120 offset1:150
	;; [unrolled: 1-line block ×3, first 2 shown]
	buffer_store_dword v5, off, s[24:27], 0 offset:320 ; 4-byte Folded Spill
	ds_write2_b64 v5, v[138:139], v[140:141] offset0:112 offset1:142
	ds_write2_b64 v2, v[132:133], v[134:135] offset1:30
	ds_write2_b64 v2, v[128:129], v[130:131] offset0:60 offset1:90
	ds_write2_b64 v2, v[124:125], v[126:127] offset0:120 offset1:150
	buffer_store_dword v2, off, s[24:27], 0 offset:384 ; 4-byte Folded Spill
	ds_write2_b64 v2, v[120:121], v[122:123] offset0:180 offset1:210
	v_add_u32_e32 v2, 0x400, v2
	v_lshlrev_b32_e32 v18, 4, v173
	v_add_f32_e32 v64, v7, v28
	v_add_f32_e32 v65, v10, v19
	v_sub_f32_e32 v70, v6, v13
	v_sub_f32_e32 v66, v9, v21
	;; [unrolled: 1-line block ×5, first 2 shown]
	buffer_store_dword v2, off, s[24:27], 0 offset:328 ; 4-byte Folded Spill
	ds_write2_b64 v2, v[116:117], v[118:119] offset0:112 offset1:142
	ds_write2_b64 v0, v[80:81], v[82:83] offset1:30
	buffer_store_dword v0, off, s[24:27], 0 offset:388 ; 4-byte Folded Spill
	ds_write2_b64 v0, v[72:73], v[74:75] offset0:60 offset1:90
	ds_write2_b64 v0, v[64:65], v[70:71] offset0:120 offset1:150
	;; [unrolled: 1-line block ×3, first 2 shown]
	buffer_store_dword v1, off, s[24:27], 0 offset:332 ; 4-byte Folded Spill
	ds_write2_b64 v1, v[56:57], v[58:59] offset0:112 offset1:142
	s_waitcnt vmcnt(0) lgkmcnt(0)
	s_barrier
	ds_read2_b64 v[152:155], v84 offset1:90
	ds_read2_b64 v[10:13], v86 offset0:132 offset1:222
	ds_read2_b64 v[14:17], v48 offset0:8 offset1:98
	;; [unrolled: 1-line block ×10, first 2 shown]
	v_mov_b32_e32 v40, v170
	ds_read2_b64 v[130:133], v170 offset0:36 offset1:126
	ds_read2_b64 v[136:139], v201 offset0:80 offset1:170
	;; [unrolled: 1-line block ×4, first 2 shown]
	global_load_dwordx4 v[56:59], v18, s[10:11] offset:2376
	v_add_co_u32_e32 v35, vcc, s10, v18
	v_addc_co_u32_e32 v36, vcc, 0, v206, vcc
	global_load_dwordx4 v[80:83], v18, s[10:11] offset:3336
	v_mov_b32_e32 v38, v173
	buffer_store_dword v38, off, s[24:27], 0 offset:308 ; 4-byte Folded Spill
	v_mov_b32_e32 v39, v86
	v_mov_b32_e32 v86, v196
	;; [unrolled: 1-line block ×4, first 2 shown]
	s_waitcnt vmcnt(2) lgkmcnt(13)
	v_mul_f32_e32 v0, v11, v57
	v_fma_f32 v4, v10, v56, -v0
	s_waitcnt lgkmcnt(12)
	v_mul_f32_e32 v0, v15, v59
	v_fma_f32 v8, v14, v58, -v0
	v_lshlrev_b32_e32 v0, 4, v156
	global_load_dwordx4 v[68:71], v0, s[10:11] offset:2376
	v_mul_f32_e32 v10, v10, v57
	v_fmac_f32_e32 v10, v11, v56
	v_mul_f32_e32 v11, v14, v59
	v_add_co_u32_e32 v14, vcc, s10, v0
	v_fmac_f32_e32 v11, v15, v58
	v_addc_co_u32_e32 v15, vcc, 0, v206, vcc
	s_waitcnt vmcnt(2) lgkmcnt(6)
	v_mul_f32_e32 v161, v31, v83
	v_fmac_f32_e32 v161, v32, v82
	s_waitcnt vmcnt(0)
	v_mul_f32_e32 v0, v13, v69
	v_fma_f32 v3, v12, v68, -v0
	v_mul_f32_e32 v0, v17, v71
	v_fma_f32 v6, v16, v70, -v0
	v_lshlrev_b32_e32 v0, 4, v157
	global_load_dwordx4 v[64:67], v0, s[10:11] offset:2376
	v_mul_f32_e32 v5, v12, v69
	v_add_co_u32_e32 v12, vcc, s10, v0
	v_fmac_f32_e32 v5, v13, v68
	v_addc_co_u32_e32 v13, vcc, 0, v206, vcc
	v_mul_f32_e32 v7, v16, v71
	v_fmac_f32_e32 v7, v17, v70
	s_waitcnt vmcnt(0)
	v_mul_f32_e32 v1, v24, v67
	v_fma_f32 v9, v23, v66, -v1
	v_add_co_u32_e32 v1, vcc, s3, v173
	v_addc_co_u32_e64 v16, s[4:5], 0, -1, vcc
	v_cmp_gt_u16_e32 vcc, 30, v173
	v_cndmask_b32_e32 v159, v16, v158, vcc
	v_cndmask_b32_e32 v158, v1, v198, vcc
	v_lshlrev_b64 v[16:17], 4, v[158:159]
	v_mul_f32_e32 v23, v23, v67
	v_add_co_u32_e32 v16, vcc, s10, v16
	v_addc_co_u32_e32 v17, vcc, v206, v17, vcc
	global_load_dwordx4 v[72:75], v[16:17], off offset:2376
	v_add_co_u32_e32 v156, vcc, s2, v35
	v_addc_co_u32_e32 v157, vcc, 0, v36, vcc
	global_load_dwordx4 v[116:119], v[156:157], off offset:680
	v_fmac_f32_e32 v23, v24, v66
	v_mul_f32_e32 v0, v20, v65
	v_fma_f32 v0, v19, v64, -v0
	v_mul_f32_e32 v2, v19, v65
	v_fmac_f32_e32 v2, v20, v64
	v_mul_f32_e32 v159, v27, v81
	v_fmac_f32_e32 v159, v28, v80
	s_movk_i32 s3, 0x384
	s_waitcnt vmcnt(1)
	v_mul_f32_e32 v1, v22, v73
	v_fma_f32 v1, v21, v72, -v1
	v_mul_f32_e32 v21, v21, v73
	v_mul_f32_e32 v16, v26, v75
	v_fmac_f32_e32 v21, v22, v72
	v_fma_f32 v22, v25, v74, -v16
	v_mul_f32_e32 v16, v28, v81
	v_mul_f32_e32 v24, v25, v75
	v_fma_f32 v25, v27, v80, -v16
	v_mul_f32_e32 v16, v32, v83
	v_fma_f32 v160, v31, v82, -v16
	s_waitcnt vmcnt(0)
	v_mul_f32_e32 v16, v30, v117
	v_fmac_f32_e32 v24, v26, v74
	v_fma_f32 v26, v29, v116, -v16
	v_mul_f32_e32 v16, v34, v119
	v_fma_f32 v31, v33, v118, -v16
	v_lshrrev_b16_e32 v16, 2, v203
	v_mul_u32_u24_e32 v16, 0x6d3b, v16
	v_lshrrev_b32_e32 v19, 21, v16
	v_mul_lo_u16_e32 v16, 0x12c, v19
	v_sub_u16_e32 v20, v203, v16
	v_lshlrev_b16_e32 v16, 4, v20
	v_add_co_u32_e32 v16, vcc, s10, v16
	v_addc_co_u32_e32 v17, vcc, 0, v206, vcc
	global_load_dwordx4 v[120:123], v[16:17], off offset:2376
	v_mul_f32_e32 v163, v33, v119
	v_fmac_f32_e32 v163, v34, v118
	v_mul_f32_e32 v29, v29, v117
	v_fmac_f32_e32 v29, v30, v116
	s_waitcnt vmcnt(0) lgkmcnt(4)
	v_mul_f32_e32 v16, v127, v121
	v_fma_f32 v27, v126, v120, -v16
	s_waitcnt lgkmcnt(3)
	v_mul_f32_e32 v16, v131, v123
	v_fma_f32 v34, v130, v122, -v16
	v_lshrrev_b16_e32 v16, 2, v204
	v_mul_u32_u24_e32 v16, 0x6d3b, v16
	v_lshrrev_b32_e32 v16, 21, v16
	v_mul_lo_u16_e32 v16, 0x12c, v16
	v_sub_u16_e32 v18, v204, v16
	v_lshlrev_b16_e32 v16, 4, v18
	v_add_co_u32_e32 v16, vcc, s10, v16
	v_mul_f32_e32 v32, v126, v121
	v_addc_co_u32_e32 v17, vcc, 0, v206, vcc
	v_fmac_f32_e32 v32, v127, v120
	global_load_dwordx4 v[124:127], v[16:17], off offset:2376
	v_mul_f32_e32 v164, v130, v123
	v_fmac_f32_e32 v164, v131, v122
	s_waitcnt vmcnt(0)
	v_mul_f32_e32 v16, v129, v125
	v_fma_f32 v28, v128, v124, -v16
	v_mul_f32_e32 v16, v133, v127
	v_fma_f32 v162, v132, v126, -v16
	v_lshrrev_b16_e32 v16, 2, v205
	v_mul_u32_u24_e32 v16, 0x6d3b, v16
	v_lshrrev_b32_e32 v16, 21, v16
	v_mul_lo_u16_e32 v16, 0x12c, v16
	v_sub_u16_e32 v17, v205, v16
	v_lshlrev_b16_e32 v16, 4, v17
	v_add_co_u32_e32 v36, vcc, s10, v16
	v_mul_f32_e32 v35, v128, v125
	v_addc_co_u32_e32 v37, vcc, 0, v206, vcc
	v_fmac_f32_e32 v35, v129, v124
	global_load_dwordx4 v[128:131], v[36:37], off offset:2376
	v_mul_f32_e32 v191, v132, v127
	v_fmac_f32_e32 v191, v133, v126
	s_waitcnt vmcnt(0) lgkmcnt(1)
	v_mul_f32_e32 v16, v166, v129
	v_fma_f32 v30, v165, v128, -v16
	s_waitcnt lgkmcnt(0)
	v_mul_f32_e32 v16, v170, v131
	v_fma_f32 v188, v169, v130, -v16
	v_lshrrev_b16_e32 v16, 2, v207
	v_mul_u32_u24_e32 v16, 0x6d3b, v16
	v_lshrrev_b32_e32 v16, 21, v16
	v_mul_lo_u16_e32 v16, 0x12c, v16
	v_sub_u16_e32 v16, v207, v16
	v_lshlrev_b16_e32 v33, 4, v16
	v_add_co_u32_e32 v36, vcc, s10, v33
	v_addc_co_u32_e32 v37, vcc, 0, v206, vcc
	global_load_dwordx4 v[132:135], v[36:37], off offset:2376
	v_mul_f32_e32 v192, v169, v131
	v_fmac_f32_e32 v192, v170, v130
	v_mul_f32_e32 v187, v165, v129
	v_fmac_f32_e32 v187, v166, v128
	s_waitcnt vmcnt(0)
	s_barrier
	v_cmp_lt_u16_e32 vcc, 29, v38
	v_mul_f32_e32 v36, v172, v135
	v_fma_f32 v190, v171, v134, -v36
	v_add_f32_e32 v36, v152, v4
	v_add_f32_e32 v179, v36, v8
	;; [unrolled: 1-line block ×3, first 2 shown]
	v_fma_f32 v181, -0.5, v36, v152
	v_sub_f32_e32 v36, v10, v11
	v_mov_b32_e32 v183, v181
	v_fmac_f32_e32 v183, 0x3f5db3d7, v36
	v_fmac_f32_e32 v181, 0xbf5db3d7, v36
	v_add_f32_e32 v36, v153, v10
	v_add_f32_e32 v10, v10, v11
	v_fma_f32 v182, -0.5, v10, v153
	v_sub_f32_e32 v4, v4, v8
	v_mov_b32_e32 v184, v182
	v_fmac_f32_e32 v184, 0xbf5db3d7, v4
	v_fmac_f32_e32 v182, 0x3f5db3d7, v4
	v_add_f32_e32 v4, v154, v3
	v_add_f32_e32 v10, v4, v6
	;; [unrolled: 1-line block ×3, first 2 shown]
	v_fma_f32 v154, -0.5, v4, v154
	v_sub_f32_e32 v8, v5, v7
	v_mov_b32_e32 v4, v154
	v_fmac_f32_e32 v4, 0x3f5db3d7, v8
	v_fmac_f32_e32 v154, 0xbf5db3d7, v8
	v_add_f32_e32 v8, v155, v5
	v_add_f32_e32 v5, v5, v7
	v_fmac_f32_e32 v155, -0.5, v5
	v_sub_f32_e32 v3, v3, v6
	v_mov_b32_e32 v5, v155
	v_fmac_f32_e32 v5, 0xbf5db3d7, v3
	v_fmac_f32_e32 v155, 0x3f5db3d7, v3
	v_add_f32_e32 v3, v148, v0
	v_add_f32_e32 v6, v3, v9
	;; [unrolled: 1-line block ×3, first 2 shown]
	v_fma_f32 v185, -0.5, v3, v148
	v_add_f32_e32 v180, v36, v11
	v_add_f32_e32 v11, v8, v7
	v_sub_f32_e32 v3, v2, v23
	v_mov_b32_e32 v8, v185
	v_fmac_f32_e32 v8, 0x3f5db3d7, v3
	v_fmac_f32_e32 v185, 0xbf5db3d7, v3
	v_add_f32_e32 v3, v149, v2
	v_add_f32_e32 v2, v2, v23
	v_fma_f32 v186, -0.5, v2, v149
	v_sub_f32_e32 v0, v0, v9
	v_mov_b32_e32 v9, v186
	v_fmac_f32_e32 v9, 0xbf5db3d7, v0
	v_fmac_f32_e32 v186, 0x3f5db3d7, v0
	v_add_f32_e32 v0, v150, v1
	v_add_f32_e32 v175, v0, v22
	;; [unrolled: 1-line block ×3, first 2 shown]
	v_fma_f32 v150, -0.5, v0, v150
	v_add_f32_e32 v7, v3, v23
	v_sub_f32_e32 v0, v21, v24
	v_mov_b32_e32 v177, v150
	v_add_f32_e32 v3, v159, v161
	v_fmac_f32_e32 v177, 0x3f5db3d7, v0
	v_fmac_f32_e32 v150, 0xbf5db3d7, v0
	v_add_f32_e32 v0, v151, v21
	v_fma_f32 v170, -0.5, v3, v145
	v_add_f32_e32 v176, v0, v24
	v_add_f32_e32 v0, v21, v24
	v_sub_f32_e32 v21, v25, v160
	v_mov_b32_e32 v3, v170
	v_fmac_f32_e32 v3, 0xbf5db3d7, v21
	v_fmac_f32_e32 v170, 0x3f5db3d7, v21
	v_add_f32_e32 v21, v146, v26
	v_mul_f32_e32 v193, v171, v135
	v_add_f32_e32 v171, v21, v31
	v_add_f32_e32 v21, v26, v31
	v_fma_f32 v146, -0.5, v21, v146
	v_sub_f32_e32 v21, v29, v163
	v_mov_b32_e32 v173, v146
	v_fmac_f32_e32 v173, 0x3f5db3d7, v21
	v_fmac_f32_e32 v146, 0xbf5db3d7, v21
	v_add_f32_e32 v21, v147, v29
	v_fmac_f32_e32 v193, v172, v134
	v_add_f32_e32 v172, v21, v163
	v_add_f32_e32 v21, v29, v163
	v_fmac_f32_e32 v147, -0.5, v21
	v_sub_f32_e32 v21, v26, v31
	v_mov_b32_e32 v174, v147
	v_mul_f32_e32 v33, v168, v133
	v_fmac_f32_e32 v174, 0xbf5db3d7, v21
	v_fmac_f32_e32 v147, 0x3f5db3d7, v21
	v_add_f32_e32 v21, v140, v27
	v_fma_f32 v33, v167, v132, -v33
	v_mul_f32_e32 v189, v167, v133
	v_add_f32_e32 v167, v21, v34
	v_add_f32_e32 v21, v27, v34
	v_fma_f32 v163, -0.5, v21, v140
	v_sub_f32_e32 v21, v32, v164
	v_mov_b32_e32 v165, v163
	v_fmac_f32_e32 v165, 0x3f5db3d7, v21
	v_fmac_f32_e32 v163, 0xbf5db3d7, v21
	v_add_f32_e32 v21, v141, v32
	v_fmac_f32_e32 v189, v168, v132
	v_add_f32_e32 v168, v21, v164
	v_add_f32_e32 v21, v32, v164
	v_fmac_f32_e32 v151, -0.5, v0
	v_sub_f32_e32 v0, v1, v22
	v_add_f32_e32 v1, v25, v160
	v_fma_f32 v164, -0.5, v21, v141
	v_fma_f32 v169, -0.5, v1, v144
	v_sub_f32_e32 v21, v27, v34
	v_mov_b32_e32 v166, v164
	v_sub_f32_e32 v1, v159, v161
	v_mov_b32_e32 v2, v169
	v_fmac_f32_e32 v166, 0xbf5db3d7, v21
	v_fmac_f32_e32 v164, 0x3f5db3d7, v21
	v_add_f32_e32 v21, v142, v28
	v_fmac_f32_e32 v2, 0x3f5db3d7, v1
	v_fmac_f32_e32 v169, 0xbf5db3d7, v1
	v_add_f32_e32 v1, v145, v159
	v_add_f32_e32 v159, v21, v162
	v_add_f32_e32 v21, v28, v162
	v_fma_f32 v142, -0.5, v21, v142
	v_mov_b32_e32 v178, v151
	v_add_f32_e32 v1, v1, v161
	v_sub_f32_e32 v21, v35, v191
	v_mov_b32_e32 v161, v142
	v_fmac_f32_e32 v178, 0xbf5db3d7, v0
	v_fmac_f32_e32 v151, 0x3f5db3d7, v0
	v_add_f32_e32 v0, v144, v25
	v_fmac_f32_e32 v161, 0x3f5db3d7, v21
	v_fmac_f32_e32 v142, 0xbf5db3d7, v21
	v_add_f32_e32 v21, v143, v35
	v_add_f32_e32 v0, v0, v160
	;; [unrolled: 1-line block ×4, first 2 shown]
	v_fmac_f32_e32 v143, -0.5, v21
	v_sub_f32_e32 v21, v28, v162
	v_mov_b32_e32 v162, v143
	v_fmac_f32_e32 v162, 0xbf5db3d7, v21
	v_fmac_f32_e32 v143, 0x3f5db3d7, v21
	v_add_f32_e32 v21, v136, v30
	v_add_f32_e32 v148, v21, v188
	;; [unrolled: 1-line block ×3, first 2 shown]
	v_fma_f32 v144, -0.5, v21, v136
	v_sub_f32_e32 v21, v187, v192
	v_mov_b32_e32 v152, v144
	v_fmac_f32_e32 v152, 0x3f5db3d7, v21
	v_fmac_f32_e32 v144, 0xbf5db3d7, v21
	v_add_f32_e32 v21, v137, v187
	v_add_f32_e32 v149, v21, v192
	;; [unrolled: 1-line block ×3, first 2 shown]
	v_fma_f32 v145, -0.5, v21, v137
	v_sub_f32_e32 v21, v30, v188
	v_mov_b32_e32 v153, v145
	v_fmac_f32_e32 v153, 0xbf5db3d7, v21
	v_fmac_f32_e32 v145, 0x3f5db3d7, v21
	v_add_f32_e32 v21, v138, v33
	ds_write_b64 v84, v[183:184] offset:2400
	ds_write_b64 v84, v[181:182] offset:4800
	ds_write2_b64 v84, v[179:180], v[10:11] offset1:90
	ds_write_b64 v84, v[6:7] offset:1440
	ds_write2_b64 v196, v[4:5], v[8:9] offset0:134 offset1:224
	v_mov_b32_e32 v4, 0x384
	v_add_f32_e32 v136, v21, v190
	v_add_f32_e32 v21, v33, v190
	v_cndmask_b32_e32 v4, 0, v4, vcc
	v_fma_f32 v138, -0.5, v21, v138
	v_add_lshl_u32 v4, v158, v4, 3
	v_sub_f32_e32 v21, v189, v193
	v_mov_b32_e32 v140, v138
	ds_write2_b64 v201, v[154:155], v[185:186] offset0:50 offset1:140
	ds_write_b64 v4, v[175:176]
	ds_write_b64 v4, v[177:178] offset:2400
	ds_write_b64 v4, v[150:151] offset:4800
	ds_write2_b64 v202, v[0:1], v[171:172] offset0:64 offset1:154
	v_mad_legacy_u16 v0, v19, s3, v20
	v_fmac_f32_e32 v140, 0x3f5db3d7, v21
	v_fmac_f32_e32 v138, 0xbf5db3d7, v21
	v_add_f32_e32 v21, v139, v189
	v_lshlrev_b32_e32 v0, 3, v0
	v_add_f32_e32 v137, v21, v193
	v_add_f32_e32 v21, v189, v193
	buffer_store_dword v4, off, s[24:27], 0 offset:392 ; 4-byte Folded Spill
	ds_write2_b64 v195, v[2:3], v[173:174] offset0:108 offset1:198
	ds_write2_b64 v194, v[169:170], v[146:147] offset0:24 offset1:114
	ds_write_b64 v0, v[167:168]
	buffer_store_dword v0, off, s[24:27], 0 offset:404 ; 4-byte Folded Spill
	ds_write_b64 v0, v[165:166] offset:2400
	ds_write_b64 v0, v[163:164] offset:4800
	v_lshlrev_b32_e32 v0, 3, v18
	v_fmac_f32_e32 v139, -0.5, v21
	v_sub_f32_e32 v21, v33, v190
	ds_write_b64 v0, v[159:160] offset:14400
	ds_write_b64 v0, v[161:162] offset:16800
	buffer_store_dword v0, off, s[24:27], 0 offset:408 ; 4-byte Folded Spill
	ds_write_b64 v0, v[142:143] offset:19200
	v_lshlrev_b32_e32 v0, 3, v17
	v_mov_b32_e32 v141, v139
	v_fmac_f32_e32 v139, 0x3f5db3d7, v21
	v_mov_b32_e32 v1, v195
	ds_write_b64 v0, v[148:149] offset:14400
	ds_write_b64 v0, v[152:153] offset:16800
	buffer_store_dword v0, off, s[24:27], 0 offset:412 ; 4-byte Folded Spill
	ds_write_b64 v0, v[144:145] offset:19200
	v_lshlrev_b32_e32 v0, 3, v16
	v_fmac_f32_e32 v141, 0xbf5db3d7, v21
	v_mov_b32_e32 v32, v194
	ds_write_b64 v0, v[136:137] offset:14400
	ds_write_b64 v0, v[140:141] offset:16800
	buffer_store_dword v0, off, s[24:27], 0 offset:416 ; 4-byte Folded Spill
	ds_write_b64 v0, v[138:139] offset:19200
	s_waitcnt vmcnt(0) lgkmcnt(0)
	s_barrier
	ds_read2_b64 v[192:195], v84 offset1:90
	ds_read2_b64 v[4:7], v39 offset0:132 offset1:222
	ds_read2_b64 v[8:11], v48 offset0:8 offset1:98
	;; [unrolled: 1-line block ×7, first 2 shown]
	v_mov_b32_e32 v47, v1
	ds_read2_b64 v[158:161], v42 offset0:112 offset1:202
	ds_read2_b64 v[180:183], v238 offset0:28 offset1:118
	;; [unrolled: 1-line block ×6, first 2 shown]
	global_load_dwordx4 v[136:139], v[156:157], off offset:3080
	v_mov_b32_e32 v196, v42
	v_mov_b32_e32 v45, v32
	ds_read2_b64 v[36:39], v197 offset0:88 offset1:178
	s_waitcnt vmcnt(0) lgkmcnt(13)
	v_mul_f32_e32 v16, v5, v137
	v_fma_f32 v40, v4, v136, -v16
	v_mul_f32_e32 v42, v4, v137
	s_waitcnt lgkmcnt(12)
	v_mul_f32_e32 v4, v9, v139
	v_fma_f32 v41, v8, v138, -v4
	v_mul_f32_e32 v4, v8, v139
	v_add_co_u32_e32 v8, vcc, s2, v14
	v_fmac_f32_e32 v4, v9, v138
	v_addc_co_u32_e32 v9, vcc, 0, v15, vcc
	global_load_dwordx4 v[140:143], v[8:9], off offset:3080
	v_fmac_f32_e32 v42, v5, v136
	s_waitcnt vmcnt(0)
	v_mul_f32_e32 v5, v7, v141
	v_fma_f32 v5, v6, v140, -v5
	v_mul_f32_e32 v9, v6, v141
	v_mul_f32_e32 v6, v11, v143
	v_fma_f32 v34, v10, v142, -v6
	v_add_co_u32_e32 v6, vcc, s2, v12
	v_fmac_f32_e32 v9, v7, v140
	v_addc_co_u32_e32 v7, vcc, 0, v13, vcc
	global_load_dwordx4 v[144:147], v[6:7], off offset:3080
	v_mul_f32_e32 v35, v10, v143
	v_fmac_f32_e32 v35, v11, v142
	s_waitcnt vmcnt(0) lgkmcnt(10)
	v_mul_f32_e32 v6, v21, v145
	v_fma_f32 v19, v20, v144, -v6
	s_waitcnt lgkmcnt(9)
	v_mul_f32_e32 v6, v25, v147
	v_fma_f32 v33, v24, v146, -v6
	v_lshlrev_b32_e32 v6, 4, v198
	v_add_co_u32_e32 v6, vcc, s10, v6
	v_addc_co_u32_e32 v7, vcc, 0, v206, vcc
	v_add_co_u32_e32 v6, vcc, s2, v6
	v_addc_co_u32_e32 v7, vcc, 0, v7, vcc
	global_load_dwordx4 v[148:151], v[6:7], off offset:3080
	v_mul_f32_e32 v32, v20, v145
	v_mul_f32_e32 v202, v24, v147
	v_fmac_f32_e32 v202, v25, v146
	v_fmac_f32_e32 v32, v21, v144
	s_waitcnt vmcnt(0)
	v_mul_f32_e32 v6, v23, v149
	v_fma_f32 v13, v22, v148, -v6
	v_mul_f32_e32 v6, v27, v151
	v_fma_f32 v208, v26, v150, -v6
	v_lshlrev_b32_e32 v6, 4, v199
	v_add_co_u32_e32 v6, vcc, s10, v6
	v_addc_co_u32_e32 v7, vcc, 0, v206, vcc
	v_add_co_u32_e32 v6, vcc, s2, v6
	v_addc_co_u32_e32 v7, vcc, 0, v7, vcc
	global_load_dwordx4 v[152:155], v[6:7], off offset:3080
	v_mul_f32_e32 v20, v22, v149
	v_fmac_f32_e32 v20, v23, v148
	v_mul_f32_e32 v211, v26, v151
	v_fmac_f32_e32 v211, v27, v150
	s_waitcnt vmcnt(0) lgkmcnt(7)
	v_mul_f32_e32 v6, v29, v153
	v_fma_f32 v17, v28, v152, -v6
	s_waitcnt lgkmcnt(6)
	v_mul_f32_e32 v6, v159, v155
	v_fma_f32 v209, v158, v154, -v6
	v_lshlrev_b32_e32 v6, 4, v200
	v_add_co_u32_e32 v6, vcc, s10, v6
	v_addc_co_u32_e32 v7, vcc, 0, v206, vcc
	v_add_co_u32_e32 v6, vcc, s2, v6
	v_mul_f32_e32 v210, v158, v155
	v_addc_co_u32_e32 v7, vcc, 0, v7, vcc
	v_fmac_f32_e32 v210, v159, v154
	global_load_dwordx4 v[156:159], v[6:7], off offset:3080
	v_mul_f32_e32 v14, v28, v153
	v_fmac_f32_e32 v14, v29, v152
	s_waitcnt vmcnt(0)
	v_mul_f32_e32 v6, v31, v157
	v_fma_f32 v15, v30, v156, -v6
	v_mul_f32_e32 v6, v161, v159
	v_fma_f32 v198, v160, v158, -v6
	v_lshlrev_b32_e32 v6, 4, v203
	v_add_co_u32_e32 v6, vcc, s10, v6
	v_addc_co_u32_e32 v7, vcc, 0, v206, vcc
	v_add_co_u32_e32 v6, vcc, s2, v6
	v_mul_f32_e32 v201, v160, v159
	v_addc_co_u32_e32 v7, vcc, 0, v7, vcc
	v_fmac_f32_e32 v201, v161, v158
	global_load_dwordx4 v[160:163], v[6:7], off offset:3080
	v_mul_f32_e32 v18, v30, v157
	v_fmac_f32_e32 v18, v31, v156
	s_waitcnt vmcnt(0) lgkmcnt(4)
	v_mul_f32_e32 v6, v167, v161
	v_fma_f32 v16, v166, v160, -v6
	s_waitcnt lgkmcnt(3)
	v_mul_f32_e32 v6, v171, v163
	v_fma_f32 v23, v170, v162, -v6
	v_lshlrev_b32_e32 v6, 4, v204
	v_add_co_u32_e32 v6, vcc, s10, v6
	v_addc_co_u32_e32 v7, vcc, 0, v206, vcc
	v_add_co_u32_e32 v6, vcc, s2, v6
	v_mul_f32_e32 v199, v166, v161
	v_addc_co_u32_e32 v7, vcc, 0, v7, vcc
	v_fmac_f32_e32 v199, v167, v160
	global_load_dwordx4 v[164:167], v[6:7], off offset:3080
	v_mul_f32_e32 v200, v170, v163
	v_fmac_f32_e32 v200, v171, v162
	s_waitcnt vmcnt(0)
	v_mul_f32_e32 v6, v169, v165
	v_fma_f32 v26, v168, v164, -v6
	v_mul_f32_e32 v6, v173, v167
	v_fma_f32 v24, v172, v166, -v6
	v_lshlrev_b32_e32 v6, 4, v205
	v_add_co_u32_e32 v6, vcc, s10, v6
	v_addc_co_u32_e32 v7, vcc, 0, v206, vcc
	v_add_co_u32_e32 v6, vcc, s2, v6
	v_mul_f32_e32 v203, v168, v165
	v_addc_co_u32_e32 v7, vcc, 0, v7, vcc
	v_fmac_f32_e32 v203, v169, v164
	global_load_dwordx4 v[168:171], v[6:7], off offset:3080
	v_mul_f32_e32 v204, v172, v167
	v_fmac_f32_e32 v204, v173, v166
	s_waitcnt vmcnt(0) lgkmcnt(1)
	v_mul_f32_e32 v6, v1, v169
	v_fma_f32 v27, v0, v168, -v6
	v_mul_f32_e32 v25, v0, v169
	s_waitcnt lgkmcnt(0)
	v_mul_f32_e32 v0, v37, v171
	v_fma_f32 v205, v36, v170, -v0
	v_lshlrev_b32_e32 v0, 4, v207
	v_add_co_u32_e32 v0, vcc, s10, v0
	v_fmac_f32_e32 v25, v1, v168
	v_addc_co_u32_e32 v1, vcc, 0, v206, vcc
	v_add_co_u32_e32 v0, vcc, s2, v0
	v_addc_co_u32_e32 v1, vcc, 0, v1, vcc
	global_load_dwordx4 v[172:175], v[0:1], off offset:3080
	v_sub_f32_e32 v1, v42, v4
	v_mul_f32_e32 v10, v36, v171
	v_sub_f32_e32 v36, v14, v210
	v_fmac_f32_e32 v10, v37, v170
	s_movk_i32 s2, 0x5460
	s_waitcnt vmcnt(0)
	v_mul_f32_e32 v0, v3, v173
	v_fma_f32 v22, v2, v172, -v0
	v_mul_f32_e32 v0, v39, v175
	v_fma_f32 v21, v38, v174, -v0
	v_add_f32_e32 v0, v192, v40
	v_add_f32_e32 v30, v0, v41
	;; [unrolled: 1-line block ×3, first 2 shown]
	v_fma_f32 v0, -0.5, v0, v192
	v_mov_b32_e32 v6, v0
	v_fmac_f32_e32 v6, 0x3f5db3d7, v1
	v_fmac_f32_e32 v0, 0xbf5db3d7, v1
	v_add_f32_e32 v1, v193, v42
	v_add_f32_e32 v31, v1, v4
	;; [unrolled: 1-line block ×3, first 2 shown]
	v_fma_f32 v1, -0.5, v1, v193
	v_mul_f32_e32 v12, v2, v173
	v_sub_f32_e32 v2, v40, v41
	v_mov_b32_e32 v7, v1
	v_fmac_f32_e32 v7, 0xbf5db3d7, v2
	v_fmac_f32_e32 v1, 0x3f5db3d7, v2
	v_add_f32_e32 v2, v194, v5
	v_add_f32_e32 v28, v2, v34
	;; [unrolled: 1-line block ×3, first 2 shown]
	v_fma_f32 v194, -0.5, v2, v194
	v_sub_f32_e32 v2, v9, v35
	v_mov_b32_e32 v8, v194
	v_fmac_f32_e32 v8, 0x3f5db3d7, v2
	v_fmac_f32_e32 v194, 0xbf5db3d7, v2
	v_add_f32_e32 v2, v195, v9
	v_add_f32_e32 v29, v2, v35
	v_add_f32_e32 v2, v9, v35
	v_fmac_f32_e32 v195, -0.5, v2
	v_sub_f32_e32 v2, v5, v34
	v_mov_b32_e32 v9, v195
	v_fmac_f32_e32 v9, 0xbf5db3d7, v2
	v_fmac_f32_e32 v195, 0x3f5db3d7, v2
	v_add_f32_e32 v2, v188, v19
	v_add_f32_e32 v34, v2, v33
	;; [unrolled: 1-line block ×3, first 2 shown]
	v_fma_f32 v2, -0.5, v2, v188
	v_fmac_f32_e32 v12, v3, v172
	v_sub_f32_e32 v3, v32, v202
	v_mov_b32_e32 v4, v2
	v_fmac_f32_e32 v4, 0x3f5db3d7, v3
	v_fmac_f32_e32 v2, 0xbf5db3d7, v3
	v_add_f32_e32 v3, v189, v32
	v_add_f32_e32 v35, v3, v202
	;; [unrolled: 1-line block ×3, first 2 shown]
	v_fma_f32 v3, -0.5, v3, v189
	v_sub_f32_e32 v19, v19, v33
	v_mov_b32_e32 v5, v3
	v_fmac_f32_e32 v5, 0xbf5db3d7, v19
	v_fmac_f32_e32 v3, 0x3f5db3d7, v19
	v_add_f32_e32 v19, v190, v13
	v_add_f32_e32 v32, v19, v208
	;; [unrolled: 1-line block ×3, first 2 shown]
	v_fma_f32 v190, -0.5, v19, v190
	v_sub_f32_e32 v33, v20, v211
	v_mov_b32_e32 v19, v190
	v_fmac_f32_e32 v19, 0x3f5db3d7, v33
	v_fmac_f32_e32 v190, 0xbf5db3d7, v33
	v_add_f32_e32 v33, v191, v20
	v_add_f32_e32 v20, v20, v211
	v_fmac_f32_e32 v191, -0.5, v20
	v_sub_f32_e32 v13, v13, v208
	v_mov_b32_e32 v20, v191
	v_fmac_f32_e32 v20, 0xbf5db3d7, v13
	v_fmac_f32_e32 v191, 0x3f5db3d7, v13
	v_add_f32_e32 v13, v184, v17
	v_add_f32_e32 v206, v13, v209
	;; [unrolled: 1-line block ×3, first 2 shown]
	v_fma_f32 v13, -0.5, v13, v184
	v_mov_b32_e32 v208, v13
	v_fmac_f32_e32 v208, 0x3f5db3d7, v36
	v_fmac_f32_e32 v13, 0xbf5db3d7, v36
	v_add_f32_e32 v36, v185, v14
	v_add_f32_e32 v14, v14, v210
	v_fma_f32 v14, -0.5, v14, v185
	v_sub_f32_e32 v17, v17, v209
	v_mov_b32_e32 v209, v14
	v_fmac_f32_e32 v209, 0xbf5db3d7, v17
	v_fmac_f32_e32 v14, 0x3f5db3d7, v17
	v_add_f32_e32 v17, v186, v15
	v_add_f32_e32 v207, v36, v210
	;; [unrolled: 1-line block ×4, first 2 shown]
	v_fma_f32 v186, -0.5, v17, v186
	v_sub_f32_e32 v36, v18, v201
	v_mov_b32_e32 v17, v186
	v_fmac_f32_e32 v17, 0x3f5db3d7, v36
	v_fmac_f32_e32 v186, 0xbf5db3d7, v36
	v_add_f32_e32 v36, v187, v18
	v_add_f32_e32 v18, v18, v201
	v_fmac_f32_e32 v187, -0.5, v18
	v_sub_f32_e32 v15, v15, v198
	v_mov_b32_e32 v18, v187
	v_fmac_f32_e32 v18, 0xbf5db3d7, v15
	v_fmac_f32_e32 v187, 0x3f5db3d7, v15
	v_add_f32_e32 v15, v180, v16
	v_add_f32_e32 v192, v15, v23
	;; [unrolled: 1-line block ×3, first 2 shown]
	v_fma_f32 v198, -0.5, v15, v180
	v_add_f32_e32 v33, v33, v211
	v_add_f32_e32 v211, v36, v201
	v_sub_f32_e32 v36, v199, v200
	v_mov_b32_e32 v15, v198
	v_fmac_f32_e32 v15, 0x3f5db3d7, v36
	v_fmac_f32_e32 v198, 0xbf5db3d7, v36
	v_add_f32_e32 v36, v181, v199
	v_add_f32_e32 v193, v36, v200
	v_add_f32_e32 v36, v199, v200
	v_fma_f32 v199, -0.5, v36, v181
	v_sub_f32_e32 v23, v16, v23
	v_mov_b32_e32 v16, v199
	v_fmac_f32_e32 v16, 0xbf5db3d7, v23
	v_fmac_f32_e32 v199, 0x3f5db3d7, v23
	v_add_f32_e32 v23, v182, v26
	v_add_f32_e32 v200, v23, v24
	;; [unrolled: 1-line block ×3, first 2 shown]
	v_fma_f32 v182, -0.5, v23, v182
	v_sub_f32_e32 v23, v203, v204
	v_mov_b32_e32 v202, v182
	v_fmac_f32_e32 v202, 0x3f5db3d7, v23
	v_fmac_f32_e32 v182, 0xbf5db3d7, v23
	v_add_f32_e32 v23, v183, v203
	v_add_f32_e32 v201, v23, v204
	;; [unrolled: 1-line block ×3, first 2 shown]
	v_fmac_f32_e32 v183, -0.5, v23
	v_sub_f32_e32 v23, v26, v24
	v_mov_b32_e32 v203, v183
	v_fmac_f32_e32 v203, 0xbf5db3d7, v23
	v_fmac_f32_e32 v183, 0x3f5db3d7, v23
	v_add_f32_e32 v23, v176, v27
	v_add_f32_e32 v180, v23, v205
	;; [unrolled: 1-line block ×3, first 2 shown]
	v_fma_f32 v188, -0.5, v23, v176
	v_sub_f32_e32 v23, v25, v10
	v_mov_b32_e32 v204, v188
	v_fmac_f32_e32 v204, 0x3f5db3d7, v23
	v_fmac_f32_e32 v188, 0xbf5db3d7, v23
	v_add_f32_e32 v23, v177, v25
	v_add_f32_e32 v181, v23, v10
	;; [unrolled: 1-line block ×3, first 2 shown]
	v_fma_f32 v189, -0.5, v10, v177
	v_sub_f32_e32 v10, v27, v205
	v_mov_b32_e32 v205, v189
	v_fmac_f32_e32 v205, 0xbf5db3d7, v10
	v_fmac_f32_e32 v189, 0x3f5db3d7, v10
	v_add_f32_e32 v10, v178, v22
	v_mul_f32_e32 v11, v38, v175
	v_add_f32_e32 v176, v10, v21
	v_add_f32_e32 v10, v22, v21
	v_fmac_f32_e32 v11, v39, v174
	v_fma_f32 v178, -0.5, v10, v178
	v_sub_f32_e32 v10, v12, v11
	v_mov_b32_e32 v184, v178
	v_fmac_f32_e32 v184, 0x3f5db3d7, v10
	v_fmac_f32_e32 v178, 0xbf5db3d7, v10
	v_add_f32_e32 v10, v179, v12
	v_add_f32_e32 v177, v10, v11
	;; [unrolled: 1-line block ×3, first 2 shown]
	v_fmac_f32_e32 v179, -0.5, v10
	v_sub_f32_e32 v10, v22, v21
	v_mov_b32_e32 v185, v179
	v_add_u32_e32 v26, 0x4400, v84
	v_add_u32_e32 v27, 0x2c00, v84
	v_fmac_f32_e32 v185, 0xbf5db3d7, v10
	v_fmac_f32_e32 v179, 0x3f5db3d7, v10
	ds_write_b64 v84, v[6:7] offset:7200
	ds_write_b64 v84, v[0:1] offset:14400
	ds_write2_b64 v84, v[30:31], v[28:29] offset1:90
	ds_write2_b64 v43, v[8:9], v[4:5] offset0:94 offset1:184
	ds_write2_b64 v48, v[194:195], v[2:3] offset0:98 offset1:188
	;; [unrolled: 1-line block ×12, first 2 shown]
	ds_write_b64 v84, v[184:185] offset:13680
	ds_write_b64 v84, v[178:179] offset:20880
	s_waitcnt lgkmcnt(0)
	s_barrier
	ds_read2_b64 v[4:7], v84 offset1:90
	buffer_load_dword v0, off, s[24:27], 0 offset:396 ; 4-byte Folded Reload
	buffer_load_dword v1, off, s[24:27], 0 offset:400 ; 4-byte Folded Reload
	v_add_co_u32_e32 v20, vcc, s2, v212
	v_addc_co_u32_e32 v21, vcc, 0, v87, vcc
	s_movk_i32 s2, 0x7000
	v_mov_b32_e32 v25, v213
	v_mov_b32_e32 v213, v44
	;; [unrolled: 1-line block ×6, first 2 shown]
	s_waitcnt vmcnt(0)
	global_load_dwordx2 v[0:1], v[0:1], off offset:1120
	s_waitcnt vmcnt(0) lgkmcnt(0)
	v_mul_f32_e32 v2, v5, v1
	v_fma_f32 v2, v4, v0, -v2
	v_mul_f32_e32 v3, v4, v1
	v_add_co_u32_e32 v4, vcc, s2, v212
	v_fmac_f32_e32 v3, v5, v0
	v_addc_co_u32_e32 v5, vcc, 0, v87, vcc
	global_load_dwordx2 v[0:1], v[4:5], off offset:128
	ds_write_b64 v84, v[2:3]
	ds_read2_b64 v[8:11], v50 offset0:132 offset1:222
	s_mov_b32 s2, 0x8000
	ds_read2_b64 v[12:15], v48 offset0:8 offset1:98
	s_waitcnt vmcnt(0) lgkmcnt(1)
	v_mul_f32_e32 v2, v9, v1
	v_fma_f32 v176, v8, v0, -v2
	v_add_co_u32_e32 v2, vcc, s2, v212
	v_mul_f32_e32 v177, v8, v1
	v_addc_co_u32_e32 v3, vcc, 0, v87, vcc
	v_fmac_f32_e32 v177, v9, v0
	global_load_dwordx2 v[8:9], v[2:3], off offset:3232
	s_mov_b32 s2, 0x9000
	s_waitcnt vmcnt(0) lgkmcnt(0)
	v_mul_f32_e32 v0, v13, v9
	v_mul_f32_e32 v1, v12, v9
	v_fma_f32 v0, v12, v8, -v0
	v_fmac_f32_e32 v1, v13, v8
	global_load_dwordx2 v[8:9], v[20:21], off offset:720
	s_waitcnt vmcnt(0)
	v_mul_f32_e32 v12, v7, v9
	v_mul_f32_e32 v13, v6, v9
	v_fma_f32 v12, v6, v8, -v12
	v_fmac_f32_e32 v13, v7, v8
	global_load_dwordx2 v[6:7], v[4:5], off offset:848
	s_waitcnt vmcnt(0)
	v_mul_f32_e32 v8, v11, v7
	v_mul_f32_e32 v17, v10, v7
	v_fma_f32 v16, v10, v6, -v8
	v_fmac_f32_e32 v17, v11, v6
	global_load_dwordx2 v[6:7], v[2:3], off offset:3952
	global_load_dwordx2 v[10:11], v[20:21], off offset:1440
	s_waitcnt vmcnt(1)
	v_mul_f32_e32 v8, v15, v7
	v_mul_f32_e32 v19, v14, v7
	v_fma_f32 v18, v14, v6, -v8
	v_fmac_f32_e32 v19, v15, v6
	ds_read2_b64 v[6:9], v44 offset0:52 offset1:142
	v_mov_b32_e32 v44, v47
	s_waitcnt vmcnt(0) lgkmcnt(0)
	v_mul_f32_e32 v14, v7, v11
	v_mul_f32_e32 v15, v6, v11
	v_fma_f32 v14, v6, v10, -v14
	v_fmac_f32_e32 v15, v7, v10
	global_load_dwordx2 v[6:7], v[4:5], off offset:1568
	ds_write2_b64 v84, v[12:13], v[14:15] offset0:90 offset1:180
	ds_read2_b64 v[10:13], v25 offset0:56 offset1:146
	s_waitcnt vmcnt(0) lgkmcnt(0)
	v_mul_f32_e32 v14, v11, v7
	v_mul_f32_e32 v15, v10, v7
	v_fma_f32 v14, v10, v6, -v14
	v_fmac_f32_e32 v15, v11, v6
	v_add_co_u32_e32 v6, vcc, s2, v212
	v_addc_co_u32_e32 v7, vcc, 0, v87, vcc
	global_load_dwordx2 v[10:11], v[6:7], off offset:576
	ds_write2_b64 v43, v[16:17], v[14:15] offset0:94 offset1:184
	ds_read2_b64 v[14:17], v49 offset0:60 offset1:150
	s_movk_i32 s2, 0x6000
	v_mov_b32_e32 v43, v238
	s_waitcnt vmcnt(0) lgkmcnt(0)
	v_mul_f32_e32 v22, v15, v11
	v_mul_f32_e32 v23, v14, v11
	v_fma_f32 v22, v14, v10, -v22
	v_fmac_f32_e32 v23, v15, v10
	global_load_dwordx2 v[10:11], v[20:21], off offset:2160
	ds_write2_b64 v48, v[18:19], v[22:23] offset0:98 offset1:188
	s_waitcnt vmcnt(0)
	v_mul_f32_e32 v14, v9, v11
	v_mul_f32_e32 v15, v8, v11
	v_fma_f32 v14, v8, v10, -v14
	v_fmac_f32_e32 v15, v9, v10
	global_load_dwordx2 v[8:9], v[4:5], off offset:2288
	s_waitcnt vmcnt(0)
	v_mul_f32_e32 v10, v13, v9
	v_mul_f32_e32 v19, v12, v9
	v_fma_f32 v18, v12, v8, -v10
	v_fmac_f32_e32 v19, v13, v8
	global_load_dwordx2 v[8:9], v[6:7], off offset:1296
	global_load_dwordx2 v[12:13], v[20:21], off offset:2880
	s_waitcnt vmcnt(1)
	v_mul_f32_e32 v10, v17, v9
	v_mul_f32_e32 v23, v16, v9
	v_fma_f32 v22, v16, v8, -v10
	v_fmac_f32_e32 v23, v17, v8
	ds_read2_b64 v[8:11], v86 offset0:104 offset1:194
	s_waitcnt vmcnt(0) lgkmcnt(0)
	v_mul_f32_e32 v16, v9, v13
	v_mul_f32_e32 v17, v8, v13
	v_fma_f32 v16, v8, v12, -v16
	v_fmac_f32_e32 v17, v9, v12
	global_load_dwordx2 v[8:9], v[4:5], off offset:3008
	ds_write2_b64 v86, v[14:15], v[16:17] offset0:14 offset1:104
	ds_read2_b64 v[12:15], v47 offset0:108 offset1:198
	global_load_dwordx2 v[4:5], v[4:5], off offset:3728
	s_waitcnt vmcnt(1) lgkmcnt(0)
	v_mul_f32_e32 v16, v13, v9
	v_mul_f32_e32 v17, v12, v9
	v_fma_f32 v16, v12, v8, -v16
	v_fmac_f32_e32 v17, v13, v8
	global_load_dwordx2 v[8:9], v[6:7], off offset:2016
	ds_write2_b64 v25, v[18:19], v[16:17] offset0:146 offset1:236
	ds_read2_b64 v[16:19], v196 offset0:112 offset1:202
	s_waitcnt vmcnt(0) lgkmcnt(0)
	v_mul_f32_e32 v12, v17, v9
	v_mul_f32_e32 v13, v16, v9
	v_fma_f32 v12, v16, v8, -v12
	v_fmac_f32_e32 v13, v17, v8
	global_load_dwordx2 v[8:9], v[20:21], off offset:3600
	ds_write2_b64 v196, v[22:23], v[12:13] offset0:22 offset1:112
	v_mul_f32_e32 v17, v14, v5
	v_fmac_f32_e32 v17, v15, v4
	v_add_co_u32_e32 v22, vcc, s2, v212
	v_addc_co_u32_e32 v23, vcc, 0, v87, vcc
	s_mov_b32 s2, 0xa000
	s_waitcnt vmcnt(0)
	v_mul_f32_e32 v12, v11, v9
	v_mul_f32_e32 v13, v10, v9
	v_fma_f32 v12, v10, v8, -v12
	v_fmac_f32_e32 v13, v11, v8
	v_mul_f32_e32 v8, v15, v5
	v_fma_f32 v16, v14, v4, -v8
	global_load_dwordx2 v[4:5], v[6:7], off offset:2736
	s_waitcnt vmcnt(0)
	v_mul_f32_e32 v8, v19, v5
	v_mul_f32_e32 v21, v18, v5
	v_fma_f32 v20, v18, v4, -v8
	v_fmac_f32_e32 v21, v19, v4
	global_load_dwordx2 v[4:5], v[22:23], off offset:1344
	ds_read2_b64 v[8:11], v238 offset0:28 offset1:118
	s_waitcnt vmcnt(0) lgkmcnt(0)
	v_mul_f32_e32 v14, v9, v5
	v_mul_f32_e32 v15, v8, v5
	v_fma_f32 v14, v8, v4, -v14
	v_fmac_f32_e32 v15, v9, v4
	v_add_u32_e32 v4, 0xc00, v84
	ds_write2_b64 v4, v[12:13], v[14:15] offset0:66 offset1:156
	global_load_dwordx2 v[4:5], v[2:3], off offset:352
	ds_read2_b64 v[12:15], v85 offset0:160 offset1:250
	s_waitcnt vmcnt(0) lgkmcnt(0)
	v_mul_f32_e32 v8, v13, v5
	v_mul_f32_e32 v9, v12, v5
	v_fma_f32 v8, v12, v4, -v8
	v_fmac_f32_e32 v9, v13, v4
	global_load_dwordx2 v[4:5], v[6:7], off offset:3456
	ds_write2_b64 v85, v[16:17], v[8:9] offset0:70 offset1:160
	ds_read2_b64 v[16:19], v51 offset0:36 offset1:126
	s_waitcnt vmcnt(0) lgkmcnt(0)
	v_mul_f32_e32 v6, v17, v5
	v_mul_f32_e32 v7, v16, v5
	v_fma_f32 v6, v16, v4, -v6
	v_fmac_f32_e32 v7, v17, v4
	global_load_dwordx2 v[4:5], v[22:23], off offset:2064
	ds_write2_b64 v26, v[20:21], v[6:7] offset0:74 offset1:164
	v_add_co_u32_e32 v16, vcc, s2, v212
	v_addc_co_u32_e32 v17, vcc, 0, v87, vcc
	v_mov_b32_e32 v212, v49
	s_mov_b32 s2, 0xa0ce5129
	s_mov_b32 s3, 0x3f3845c8
	s_waitcnt vmcnt(0)
	v_mul_f32_e32 v6, v11, v5
	v_mul_f32_e32 v9, v10, v5
	v_fma_f32 v8, v10, v4, -v6
	v_fmac_f32_e32 v9, v11, v4
	global_load_dwordx2 v[4:5], v[2:3], off offset:1072
	global_load_dwordx2 v[10:11], v[22:23], off offset:2784
	s_waitcnt vmcnt(1)
	v_mul_f32_e32 v6, v15, v5
	v_mul_f32_e32 v13, v14, v5
	v_fma_f32 v12, v14, v4, -v6
	v_fmac_f32_e32 v13, v15, v4
	global_load_dwordx2 v[4:5], v[16:17], off offset:80
	s_waitcnt vmcnt(0)
	v_mul_f32_e32 v6, v19, v5
	v_mul_f32_e32 v21, v18, v5
	v_fma_f32 v20, v18, v4, -v6
	v_fmac_f32_e32 v21, v19, v4
	ds_read2_b64 v[4:7], v46 offset0:80 offset1:170
	v_mov_b32_e32 v46, v86
	s_waitcnt lgkmcnt(0)
	v_mul_f32_e32 v14, v5, v11
	v_mul_f32_e32 v15, v4, v11
	v_fma_f32 v14, v4, v10, -v14
	v_fmac_f32_e32 v15, v5, v10
	global_load_dwordx2 v[4:5], v[2:3], off offset:1792
	ds_write2_b64 v238, v[8:9], v[14:15] offset0:118 offset1:208
	ds_read2_b64 v[8:11], v45 offset0:84 offset1:174
	global_load_dwordx2 v[2:3], v[2:3], off offset:2512
	v_mov_b32_e32 v238, v50
	v_mov_b32_e32 v45, v196
	s_waitcnt vmcnt(1) lgkmcnt(0)
	v_mul_f32_e32 v14, v9, v5
	v_mul_f32_e32 v15, v8, v5
	v_fma_f32 v14, v8, v4, -v14
	v_fmac_f32_e32 v15, v9, v4
	global_load_dwordx2 v[4:5], v[16:17], off offset:800
	ds_write2_b64 v27, v[12:13], v[14:15] offset0:122 offset1:212
	ds_read2_b64 v[12:15], v197 offset0:88 offset1:178
	s_waitcnt vmcnt(0) lgkmcnt(0)
	v_mul_f32_e32 v8, v13, v5
	v_mul_f32_e32 v9, v12, v5
	v_fma_f32 v8, v12, v4, -v8
	v_fmac_f32_e32 v9, v13, v4
	global_load_dwordx2 v[4:5], v[22:23], off offset:3504
	ds_write2_b64 v51, v[20:21], v[8:9] offset0:126 offset1:216
	s_waitcnt vmcnt(0)
	v_mul_f32_e32 v8, v7, v5
	v_mul_f32_e32 v9, v6, v5
	v_fma_f32 v8, v6, v4, -v8
	v_fmac_f32_e32 v9, v7, v4
	v_mul_f32_e32 v4, v11, v3
	v_mul_f32_e32 v5, v10, v3
	v_fma_f32 v4, v10, v2, -v4
	v_fmac_f32_e32 v5, v11, v2
	v_add_u32_e32 v2, 0x3400, v84
	ds_write2_b64 v2, v[4:5], v[0:1] offset0:46 offset1:136
	global_load_dwordx2 v[0:1], v[16:17], off offset:1520
	ds_write2_b64 v50, v[8:9], v[176:177] offset0:42 offset1:132
	s_waitcnt vmcnt(0)
	v_mul_f32_e32 v2, v15, v1
	v_mul_f32_e32 v3, v14, v1
	v_fma_f32 v2, v14, v0, -v2
	v_fmac_f32_e32 v3, v15, v0
	ds_write_b64 v84, v[2:3] offset:20880
	s_waitcnt lgkmcnt(0)
	s_barrier
	ds_read2_b64 v[192:195], v84 offset1:90
	ds_read2_b64 v[7:10], v50 offset0:132 offset1:222
	ds_read2_b64 v[11:14], v48 offset0:8 offset1:98
	;; [unrolled: 1-line block ×5, first 2 shown]
	s_waitcnt lgkmcnt(4)
	v_add_f32_e32 v0, v192, v7
	s_waitcnt lgkmcnt(3)
	v_add_f32_e32 v2, v0, v11
	v_add_f32_e32 v0, v7, v11
	v_fma_f32 v0, -0.5, v0, v192
	v_sub_f32_e32 v1, v8, v12
	v_mov_b32_e32 v4, v0
	v_fmac_f32_e32 v4, 0xbf5db3d7, v1
	v_fmac_f32_e32 v0, 0x3f5db3d7, v1
	v_add_f32_e32 v1, v193, v8
	v_add_f32_e32 v3, v1, v12
	;; [unrolled: 1-line block ×3, first 2 shown]
	v_fma_f32 v1, -0.5, v1, v193
	v_sub_f32_e32 v6, v7, v11
	v_mov_b32_e32 v5, v1
	v_add_f32_e32 v7, v9, v13
	v_fmac_f32_e32 v5, 0x3f5db3d7, v6
	v_fmac_f32_e32 v1, 0xbf5db3d7, v6
	v_add_f32_e32 v6, v194, v9
	v_fma_f32 v194, -0.5, v7, v194
	v_sub_f32_e32 v7, v10, v14
	v_mov_b32_e32 v8, v194
	v_fmac_f32_e32 v8, 0xbf5db3d7, v7
	v_fmac_f32_e32 v194, 0x3f5db3d7, v7
	v_add_f32_e32 v7, v195, v10
	v_add_f32_e32 v10, v10, v14
	v_fmac_f32_e32 v195, -0.5, v10
	v_sub_f32_e32 v10, v9, v13
	v_mov_b32_e32 v9, v195
	v_fmac_f32_e32 v9, 0x3f5db3d7, v10
	v_fmac_f32_e32 v195, 0xbf5db3d7, v10
	s_waitcnt lgkmcnt(1)
	v_add_f32_e32 v10, v188, v17
	s_waitcnt lgkmcnt(0)
	v_add_f32_e32 v12, v10, v21
	v_add_f32_e32 v10, v17, v21
	v_fma_f32 v10, -0.5, v10, v188
	v_add_f32_e32 v7, v7, v14
	v_sub_f32_e32 v11, v18, v22
	v_mov_b32_e32 v14, v10
	v_fmac_f32_e32 v14, 0xbf5db3d7, v11
	v_fmac_f32_e32 v10, 0x3f5db3d7, v11
	v_add_f32_e32 v11, v189, v18
	ds_read2_b64 v[184:187], v86 offset0:104 offset1:194
	ds_read2_b64 v[25:28], v47 offset0:108 offset1:198
	;; [unrolled: 1-line block ×3, first 2 shown]
	v_add_f32_e32 v6, v6, v13
	v_add_f32_e32 v13, v11, v22
	;; [unrolled: 1-line block ×3, first 2 shown]
	v_fma_f32 v11, -0.5, v11, v189
	v_sub_f32_e32 v16, v17, v21
	v_mov_b32_e32 v15, v11
	v_add_f32_e32 v17, v19, v23
	v_fmac_f32_e32 v15, 0x3f5db3d7, v16
	v_fmac_f32_e32 v11, 0xbf5db3d7, v16
	v_add_f32_e32 v16, v190, v19
	v_fma_f32 v190, -0.5, v17, v190
	v_sub_f32_e32 v17, v20, v24
	v_mov_b32_e32 v18, v190
	v_fmac_f32_e32 v18, 0xbf5db3d7, v17
	v_fmac_f32_e32 v190, 0x3f5db3d7, v17
	v_add_f32_e32 v17, v191, v20
	v_add_f32_e32 v20, v20, v24
	s_waitcnt lgkmcnt(0)
	v_add_f32_e32 v21, v25, v29
	v_add_f32_e32 v16, v16, v23
	v_fmac_f32_e32 v191, -0.5, v20
	v_sub_f32_e32 v20, v19, v23
	v_fma_f32 v22, -0.5, v21, v184
	v_add_f32_e32 v23, v26, v30
	v_add_f32_e32 v17, v17, v24
	v_mov_b32_e32 v19, v191
	v_sub_f32_e32 v21, v26, v30
	v_mov_b32_e32 v24, v22
	v_fma_f32 v23, -0.5, v23, v185
	v_fmac_f32_e32 v19, 0x3f5db3d7, v20
	v_fmac_f32_e32 v191, 0xbf5db3d7, v20
	v_add_f32_e32 v20, v184, v25
	v_fmac_f32_e32 v24, 0xbf5db3d7, v21
	v_fmac_f32_e32 v22, 0x3f5db3d7, v21
	v_add_f32_e32 v21, v185, v26
	v_sub_f32_e32 v26, v25, v29
	v_mov_b32_e32 v25, v23
	v_fmac_f32_e32 v25, 0x3f5db3d7, v26
	v_fmac_f32_e32 v23, 0xbf5db3d7, v26
	v_add_f32_e32 v26, v186, v27
	v_add_f32_e32 v20, v20, v29
	v_add_f32_e32 v29, v26, v31
	v_add_f32_e32 v26, v27, v31
	ds_read2_b64 v[180:183], v43 offset0:28 offset1:118
	ds_read2_b64 v[204:207], v85 offset0:160 offset1:250
	v_fma_f32 v186, -0.5, v26, v186
	v_add_f32_e32 v21, v21, v30
	v_sub_f32_e32 v30, v28, v32
	v_mov_b32_e32 v26, v186
	ds_read2_b64 v[208:211], v51 offset0:36 offset1:126
	ds_read2_b64 v[176:179], v34 offset0:80 offset1:170
	v_fmac_f32_e32 v26, 0xbf5db3d7, v30
	v_fmac_f32_e32 v186, 0x3f5db3d7, v30
	v_add_f32_e32 v30, v187, v28
	v_add_f32_e32 v28, v28, v32
	v_fmac_f32_e32 v187, -0.5, v28
	v_sub_f32_e32 v28, v27, v31
	v_mov_b32_e32 v27, v187
	v_fmac_f32_e32 v27, 0x3f5db3d7, v28
	v_fmac_f32_e32 v187, 0xbf5db3d7, v28
	s_waitcnt lgkmcnt(2)
	v_add_f32_e32 v28, v180, v204
	s_waitcnt lgkmcnt(1)
	v_add_f32_e32 v31, v28, v208
	v_add_f32_e32 v28, v204, v208
	v_mov_b32_e32 v50, v85
	ds_read2_b64 v[200:203], v33 offset0:88 offset1:178
	v_mov_b32_e32 v85, v33
	v_fma_f32 v33, -0.5, v28, v180
	ds_read2_b64 v[196:199], v35 offset0:84 offset1:174
	v_mov_b32_e32 v47, v35
	v_sub_f32_e32 v28, v205, v209
	v_mov_b32_e32 v35, v33
	v_fmac_f32_e32 v35, 0xbf5db3d7, v28
	v_fmac_f32_e32 v33, 0x3f5db3d7, v28
	v_add_f32_e32 v28, v181, v205
	v_add_f32_e32 v30, v30, v32
	v_add_f32_e32 v32, v28, v209
	v_add_f32_e32 v28, v205, v209
	v_mov_b32_e32 v49, v34
	v_fma_f32 v34, -0.5, v28, v181
	v_sub_f32_e32 v28, v204, v208
	v_mov_b32_e32 v36, v34
	v_fmac_f32_e32 v36, 0x3f5db3d7, v28
	v_fmac_f32_e32 v34, 0xbf5db3d7, v28
	v_add_f32_e32 v28, v182, v206
	v_add_f32_e32 v37, v28, v210
	v_add_f32_e32 v28, v206, v210
	v_fma_f32 v182, -0.5, v28, v182
	v_sub_f32_e32 v28, v207, v211
	v_mov_b32_e32 v39, v182
	v_fmac_f32_e32 v39, 0xbf5db3d7, v28
	v_fmac_f32_e32 v182, 0x3f5db3d7, v28
	v_add_f32_e32 v28, v183, v207
	v_add_f32_e32 v38, v28, v211
	;; [unrolled: 1-line block ×3, first 2 shown]
	v_fmac_f32_e32 v183, -0.5, v28
	v_sub_f32_e32 v28, v206, v210
	v_mov_b32_e32 v40, v183
	v_fmac_f32_e32 v40, 0x3f5db3d7, v28
	v_fmac_f32_e32 v183, 0xbf5db3d7, v28
	s_waitcnt lgkmcnt(0)
	v_add_f32_e32 v28, v176, v196
	v_add_f32_e32 v41, v28, v200
	v_add_f32_e32 v28, v196, v200
	v_fma_f32 v176, -0.5, v28, v176
	v_sub_f32_e32 v28, v197, v201
	v_mov_b32_e32 v180, v176
	v_fmac_f32_e32 v180, 0xbf5db3d7, v28
	v_fmac_f32_e32 v176, 0x3f5db3d7, v28
	v_add_f32_e32 v28, v177, v197
	v_add_f32_e32 v42, v28, v201
	v_add_f32_e32 v28, v197, v201
	v_fma_f32 v177, -0.5, v28, v177
	v_sub_f32_e32 v28, v196, v200
	v_mov_b32_e32 v181, v177
	v_fmac_f32_e32 v181, 0x3f5db3d7, v28
	v_fmac_f32_e32 v177, 0xbf5db3d7, v28
	;; [unrolled: 8-line block ×3, first 2 shown]
	v_add_f32_e32 v28, v179, v199
	v_add_f32_e32 v185, v28, v203
	;; [unrolled: 1-line block ×3, first 2 shown]
	v_fmac_f32_e32 v179, -0.5, v28
	v_sub_f32_e32 v28, v198, v202
	v_mov_b32_e32 v189, v179
	v_fmac_f32_e32 v189, 0x3f5db3d7, v28
	v_fmac_f32_e32 v179, 0xbf5db3d7, v28
	s_barrier
	buffer_load_dword v28, off, s[24:27], 0 offset:368 ; 4-byte Folded Reload
	s_waitcnt vmcnt(0)
	ds_write2_b64 v28, v[2:3], v[4:5] offset1:1
	ds_write_b64 v28, v[0:1] offset:16
	buffer_load_dword v0, off, s[24:27], 0 offset:360 ; 4-byte Folded Reload
	s_waitcnt vmcnt(0)
	ds_write2_b64 v0, v[6:7], v[8:9] offset1:1
	ds_write_b64 v0, v[194:195] offset:16
	;; [unrolled: 4-line block ×10, first 2 shown]
	s_waitcnt lgkmcnt(0)
	s_barrier
	ds_read2_b64 v[180:183], v84 offset1:90
	ds_read2_b64 v[176:179], v213 offset0:52 offset1:142
	ds_read2_b64 v[0:3], v43 offset0:28 offset1:118
	;; [unrolled: 1-line block ×5, first 2 shown]
	v_mov_b32_e32 v208, v43
	s_waitcnt lgkmcnt(4)
	v_mul_f32_e32 v12, v77, v178
	s_waitcnt lgkmcnt(3)
	v_mul_f32_e32 v187, v79, v1
	v_fmac_f32_e32 v187, v78, v0
	v_mul_f32_e32 v0, v79, v0
	v_mul_f32_e32 v16, v77, v179
	v_fma_f32 v18, v76, v179, -v12
	v_fma_f32 v179, v78, v1, -v0
	s_waitcnt lgkmcnt(2)
	v_mul_f32_e32 v0, v61, v22
	v_fmac_f32_e32 v16, v76, v178
	v_fma_f32 v76, v60, v23, -v0
	s_waitcnt lgkmcnt(1)
	v_mul_f32_e32 v188, v63, v5
	v_mul_f32_e32 v0, v63, v4
	v_mov_b32_e32 v209, v44
	ds_read2_b64 v[8:11], v47 offset0:84 offset1:174
	ds_read2_b64 v[28:31], v48 offset0:8 offset1:98
	;; [unrolled: 1-line block ×9, first 2 shown]
	v_mov_b32_e32 v44, v85
	v_mul_f32_e32 v85, v61, v23
	v_fmac_f32_e32 v188, v62, v4
	v_fma_f32 v184, v62, v5, -v0
	buffer_load_dword v4, off, s[24:27], 0 offset:420 ; 4-byte Folded Reload
	buffer_load_dword v5, off, s[24:27], 0 offset:424 ; 4-byte Folded Reload
	v_fmac_f32_e32 v85, v60, v22
	buffer_load_dword v22, off, s[24:27], 0 offset:376 ; 4-byte Folded Reload
	buffer_load_dword v23, off, s[24:27], 0 offset:380 ; 4-byte Folded Reload
	s_waitcnt lgkmcnt(9)
	v_mul_f32_e32 v0, v53, v26
	v_fma_f32 v77, v52, v27, -v0
	s_waitcnt lgkmcnt(8)
	v_mul_f32_e32 v0, v55, v8
	v_fma_f32 v185, v54, v9, -v0
	s_waitcnt lgkmcnt(7)
	v_mul_f32_e32 v0, v219, v30
	v_mul_f32_e32 v189, v55, v9
	v_fma_f32 v78, v218, v31, -v0
	s_waitcnt lgkmcnt(6)
	v_mul_f32_e32 v0, v221, v32
	v_mul_f32_e32 v17, v107, v11
	v_fmac_f32_e32 v189, v54, v8
	v_fma_f32 v186, v220, v33, -v0
	v_fmac_f32_e32 v17, v106, v10
	v_mul_f32_e32 v54, v91, v29
	v_mul_f32_e32 v86, v53, v27
	v_fmac_f32_e32 v54, v90, v28
	v_fmac_f32_e32 v86, v52, v26
	s_waitcnt lgkmcnt(5)
	v_mul_f32_e32 v26, v217, v36
	v_fma_f32 v53, v216, v37, -v26
	v_mul_f32_e32 v50, v103, v21
	v_mul_f32_e32 v190, v221, v33
	v_fmac_f32_e32 v50, v102, v20
	v_mul_f32_e32 v20, v103, v20
	v_mov_b32_e32 v210, v48
	v_fmac_f32_e32 v190, v220, v32
	v_fma_f32 v48, v102, v21, -v20
	v_mul_f32_e32 v52, v95, v25
	v_mul_f32_e32 v21, v95, v24
	v_mov_b32_e32 v207, v49
	v_fmac_f32_e32 v52, v94, v24
	v_fma_f32 v49, v94, v25, -v21
	s_waitcnt lgkmcnt(2)
	v_mul_f32_e32 v24, v89, v198
	v_mul_f32_e32 v21, v89, v197
	v_fmac_f32_e32 v24, v88, v197
	v_fma_f32 v21, v88, v198, -v21
	v_mov_b32_e32 v211, v45
	v_mov_b32_e32 v45, v51
	v_mul_f32_e32 v20, v93, v193
	v_fma_f32 v20, v92, v194, -v20
	v_mul_f32_e32 v87, v219, v31
	v_fmac_f32_e32 v87, v218, v30
	v_sub_f32_e32 v30, v184, v179
	v_sub_f32_e32 v31, v185, v186
	v_add_f32_e32 v30, v30, v31
	v_mul_f32_e32 v19, v99, v35
	v_fmac_f32_e32 v19, v98, v34
	v_sub_f32_e32 v32, v77, v78
	v_sub_f32_e32 v33, v85, v86
	v_mul_f32_e32 v55, v217, v37
	v_fmac_f32_e32 v55, v216, v36
	v_sub_f32_e32 v36, v86, v87
	v_sub_f32_e32 v37, v76, v77
	v_mul_f32_e32 v14, v111, v7
	v_mul_f32_e32 v12, v115, v3
	v_fmac_f32_e32 v14, v110, v6
	v_mul_f32_e32 v1, v113, v40
	v_fmac_f32_e32 v12, v114, v2
	v_mul_f32_e32 v2, v115, v2
	v_fma_f32 v8, v114, v3, -v2
	v_mul_f32_e32 v3, v111, v6
	v_fma_f32 v9, v110, v7, -v3
	v_mul_f32_e32 v6, v105, v196
	v_mul_f32_e32 v3, v105, v195
	s_waitcnt lgkmcnt(1)
	v_mul_f32_e32 v7, v97, v200
	v_fmac_f32_e32 v6, v104, v195
	v_fmac_f32_e32 v7, v96, v199
	v_mul_f32_e32 v2, v109, v191
	v_fma_f32 v2, v108, v192, -v2
	v_fma_f32 v3, v104, v196, -v3
	;; [unrolled: 1-line block ×3, first 2 shown]
	v_mul_f32_e32 v25, v215, v202
	v_fmac_f32_e32 v25, v214, v201
	s_waitcnt vmcnt(2)
	v_mul_f32_e32 v178, v5, v39
	v_mul_f32_e32 v0, v5, v38
	;; [unrolled: 1-line block ×4, first 2 shown]
	v_fma_f32 v15, v98, v35, -v10
	s_waitcnt vmcnt(0) lgkmcnt(0)
	v_mul_f32_e32 v63, v23, v204
	v_mul_f32_e32 v10, v23, v203
	;; [unrolled: 1-line block ×3, first 2 shown]
	buffer_load_dword v27, off, s[24:27], 0 offset:428 ; 4-byte Folded Reload
	buffer_load_dword v28, off, s[24:27], 0 offset:432 ; 4-byte Folded Reload
	v_fma_f32 v51, v90, v29, -v23
	v_sub_f32_e32 v29, v190, v189
	v_fmac_f32_e32 v63, v22, v203
	v_fma_f32 v62, v22, v204, -v10
	v_mul_f32_e32 v22, v93, v194
	v_fmac_f32_e32 v22, v92, v193
	v_fma_f32 v79, v4, v39, -v0
	v_fmac_f32_e32 v178, v4, v38
	v_sub_f32_e32 v34, v178, v87
	v_add_f32_e32 v33, v33, v34
	v_sub_f32_e32 v34, v86, v85
	v_sub_f32_e32 v35, v87, v178
	v_add_f32_e32 v34, v34, v35
	v_sub_f32_e32 v38, v79, v78
	v_add_f32_e32 v37, v37, v38
	v_sub_f32_e32 v38, v77, v76
	v_sub_f32_e32 v39, v78, v79
	v_add_f32_e32 v38, v38, v39
	v_mul_f32_e32 v0, v113, v41
	v_fma_f32 v13, v106, v11, -v5
	v_fmac_f32_e32 v0, v112, v40
	v_mul_f32_e32 v4, v109, v192
	v_mul_f32_e32 v5, v97, v199
	v_fmac_f32_e32 v4, v108, v191
	v_fma_f32 v5, v96, v200, -v5
	v_mul_f32_e32 v10, v101, v43
	v_mul_f32_e32 v11, v101, v42
	v_fmac_f32_e32 v10, v100, v42
	v_fma_f32 v11, v100, v43, -v11
	v_mul_f32_e32 v23, v215, v201
	v_fma_f32 v23, v214, v202, -v23
	s_waitcnt vmcnt(0)
	s_barrier
	v_mul_f32_e32 v26, v28, v205
	v_fma_f32 v60, v27, v206, -v26
	v_add_f32_e32 v26, v180, v187
	v_add_f32_e32 v26, v26, v188
	;; [unrolled: 1-line block ×5, first 2 shown]
	v_fma_f32 v88, -0.5, v26, v180
	v_mul_f32_e32 v61, v28, v206
	v_sub_f32_e32 v26, v179, v186
	v_mov_b32_e32 v90, v88
	v_fmac_f32_e32 v61, v27, v205
	v_fmac_f32_e32 v90, 0xbf737871, v26
	v_sub_f32_e32 v27, v184, v185
	v_sub_f32_e32 v28, v187, v188
	v_fmac_f32_e32 v88, 0x3f737871, v26
	v_fmac_f32_e32 v90, 0xbf167918, v27
	v_add_f32_e32 v28, v28, v29
	v_fmac_f32_e32 v88, 0x3f167918, v27
	v_fmac_f32_e32 v90, 0x3e9e377a, v28
	;; [unrolled: 1-line block ×3, first 2 shown]
	v_add_f32_e32 v28, v187, v190
	v_fma_f32 v91, -0.5, v28, v180
	v_mov_b32_e32 v92, v91
	v_fmac_f32_e32 v92, 0x3f737871, v27
	v_fmac_f32_e32 v91, 0xbf737871, v27
	;; [unrolled: 1-line block ×4, first 2 shown]
	v_add_f32_e32 v26, v181, v179
	v_add_f32_e32 v26, v26, v184
	;; [unrolled: 1-line block ×3, first 2 shown]
	v_sub_f32_e32 v28, v188, v187
	v_sub_f32_e32 v29, v189, v190
	v_add_f32_e32 v94, v26, v186
	v_add_f32_e32 v26, v184, v185
	;; [unrolled: 1-line block ×3, first 2 shown]
	v_fma_f32 v93, -0.5, v26, v181
	v_fmac_f32_e32 v92, 0x3e9e377a, v28
	v_fmac_f32_e32 v91, 0x3e9e377a, v28
	v_sub_f32_e32 v28, v187, v190
	v_mov_b32_e32 v95, v93
	v_fmac_f32_e32 v95, 0x3f737871, v28
	v_sub_f32_e32 v29, v188, v189
	v_sub_f32_e32 v26, v179, v184
	;; [unrolled: 1-line block ×3, first 2 shown]
	v_fmac_f32_e32 v93, 0xbf737871, v28
	v_fmac_f32_e32 v95, 0x3f167918, v29
	v_add_f32_e32 v26, v26, v27
	v_fmac_f32_e32 v93, 0xbf167918, v29
	v_fmac_f32_e32 v95, 0x3e9e377a, v26
	;; [unrolled: 1-line block ×3, first 2 shown]
	v_add_f32_e32 v26, v179, v186
	v_fma_f32 v26, -0.5, v26, v181
	v_mov_b32_e32 v27, v26
	v_fmac_f32_e32 v27, 0xbf737871, v29
	v_fmac_f32_e32 v26, 0x3f737871, v29
	v_add_f32_e32 v29, v86, v87
	v_fmac_f32_e32 v27, 0x3f167918, v28
	v_fmac_f32_e32 v26, 0xbf167918, v28
	v_fma_f32 v29, -0.5, v29, v16
	v_fmac_f32_e32 v27, 0x3e9e377a, v30
	v_fmac_f32_e32 v26, 0x3e9e377a, v30
	v_sub_f32_e32 v30, v76, v79
	v_mov_b32_e32 v31, v29
	v_fmac_f32_e32 v31, 0xbf737871, v30
	v_fmac_f32_e32 v29, 0x3f737871, v30
	;; [unrolled: 1-line block ×6, first 2 shown]
	v_add_f32_e32 v33, v85, v178
	v_add_f32_e32 v28, v16, v85
	v_fmac_f32_e32 v16, -0.5, v33
	v_mov_b32_e32 v33, v16
	v_fmac_f32_e32 v33, 0x3f737871, v32
	v_fmac_f32_e32 v16, 0xbf737871, v32
	v_add_f32_e32 v32, v77, v78
	v_fmac_f32_e32 v33, 0xbf167918, v30
	v_fmac_f32_e32 v16, 0x3f167918, v30
	v_fma_f32 v32, -0.5, v32, v18
	v_fmac_f32_e32 v33, 0x3e9e377a, v34
	v_fmac_f32_e32 v16, 0x3e9e377a, v34
	v_sub_f32_e32 v34, v85, v178
	v_mov_b32_e32 v35, v32
	v_fmac_f32_e32 v35, 0x3f737871, v34
	v_fmac_f32_e32 v32, 0xbf737871, v34
	;; [unrolled: 1-line block ×6, first 2 shown]
	v_add_f32_e32 v37, v76, v79
	v_add_f32_e32 v30, v18, v76
	v_fmac_f32_e32 v18, -0.5, v37
	v_mov_b32_e32 v37, v18
	v_fmac_f32_e32 v18, 0x3f737871, v36
	v_fmac_f32_e32 v37, 0xbf737871, v36
	;; [unrolled: 1-line block ×6, first 2 shown]
	v_mul_f32_e32 v38, 0xbf737871, v18
	v_mul_f32_e32 v18, 0xbe9e377a, v18
	;; [unrolled: 1-line block ×4, first 2 shown]
	v_fmac_f32_e32 v18, 0x3f737871, v16
	v_add_f32_e32 v28, v28, v86
	v_add_f32_e32 v30, v30, v77
	v_fmac_f32_e32 v34, 0x3f4f1bbd, v31
	v_fmac_f32_e32 v35, 0x3f167918, v31
	v_mul_f32_e32 v31, 0x3e9e377a, v37
	v_add_f32_e32 v113, v26, v18
	v_sub_f32_e32 v115, v26, v18
	v_add_f32_e32 v18, v14, v17
	v_add_f32_e32 v28, v28, v87
	;; [unrolled: 1-line block ×3, first 2 shown]
	v_fmac_f32_e32 v31, 0x3f737871, v33
	v_fma_f32 v18, -0.5, v18, v182
	v_add_f32_e32 v28, v28, v178
	v_add_f32_e32 v30, v30, v79
	v_fmac_f32_e32 v38, 0xbe9e377a, v16
	v_mul_f32_e32 v39, 0xbf167918, v32
	v_add_f32_e32 v111, v27, v31
	v_mul_f32_e32 v16, 0xbf4f1bbd, v32
	v_sub_f32_e32 v185, v27, v31
	v_sub_f32_e32 v26, v8, v15
	v_mov_b32_e32 v27, v18
	v_add_f32_e32 v188, v89, v28
	v_fmac_f32_e32 v39, 0xbf4f1bbd, v29
	v_add_f32_e32 v189, v94, v30
	v_fmac_f32_e32 v16, 0x3f167918, v29
	v_sub_f32_e32 v186, v89, v28
	v_sub_f32_e32 v187, v94, v30
	v_fmac_f32_e32 v27, 0xbf737871, v26
	v_sub_f32_e32 v28, v9, v13
	v_sub_f32_e32 v29, v12, v14
	;; [unrolled: 1-line block ×3, first 2 shown]
	v_fmac_f32_e32 v18, 0x3f737871, v26
	v_fmac_f32_e32 v27, 0xbf167918, v28
	v_add_f32_e32 v29, v29, v30
	v_fmac_f32_e32 v18, 0x3f167918, v28
	v_fmac_f32_e32 v27, 0x3e9e377a, v29
	;; [unrolled: 1-line block ×3, first 2 shown]
	v_add_f32_e32 v29, v12, v19
	v_fma_f32 v29, -0.5, v29, v182
	v_add_f32_e32 v105, v93, v16
	v_sub_f32_e32 v179, v93, v16
	v_add_f32_e32 v16, v182, v12
	v_mov_b32_e32 v30, v29
	v_add_f32_e32 v16, v16, v14
	v_fmac_f32_e32 v30, 0x3f737871, v28
	v_fmac_f32_e32 v29, 0xbf737871, v28
	v_add_f32_e32 v28, v9, v13
	v_add_f32_e32 v16, v16, v17
	v_sub_f32_e32 v31, v14, v12
	v_sub_f32_e32 v32, v17, v19
	v_fma_f32 v28, -0.5, v28, v183
	v_add_f32_e32 v16, v16, v19
	v_fmac_f32_e32 v30, 0xbf167918, v26
	v_add_f32_e32 v31, v31, v32
	v_fmac_f32_e32 v29, 0x3f167918, v26
	v_sub_f32_e32 v12, v12, v19
	v_mov_b32_e32 v19, v28
	v_fmac_f32_e32 v30, 0x3e9e377a, v31
	v_fmac_f32_e32 v29, 0x3e9e377a, v31
	;; [unrolled: 1-line block ×3, first 2 shown]
	v_sub_f32_e32 v14, v14, v17
	v_sub_f32_e32 v17, v8, v9
	;; [unrolled: 1-line block ×3, first 2 shown]
	v_fmac_f32_e32 v28, 0xbf737871, v12
	v_fmac_f32_e32 v19, 0x3f167918, v14
	v_add_f32_e32 v17, v17, v31
	v_fmac_f32_e32 v28, 0xbf167918, v14
	v_add_f32_e32 v26, v183, v8
	v_fmac_f32_e32 v19, 0x3e9e377a, v17
	v_fmac_f32_e32 v28, 0x3e9e377a, v17
	v_add_f32_e32 v17, v8, v15
	v_add_f32_e32 v26, v26, v9
	v_fmac_f32_e32 v183, -0.5, v17
	v_sub_f32_e32 v8, v9, v8
	v_sub_f32_e32 v9, v13, v15
	v_mov_b32_e32 v17, v183
	v_add_f32_e32 v8, v8, v9
	v_add_f32_e32 v9, v6, v7
	v_fmac_f32_e32 v17, 0xbf737871, v14
	v_fmac_f32_e32 v183, 0x3f737871, v14
	v_fma_f32 v9, -0.5, v9, v0
	v_add_f32_e32 v26, v26, v13
	v_fmac_f32_e32 v17, 0x3f167918, v12
	v_fmac_f32_e32 v183, 0xbf167918, v12
	v_sub_f32_e32 v12, v2, v62
	v_mov_b32_e32 v13, v9
	v_add_f32_e32 v26, v26, v15
	v_fmac_f32_e32 v13, 0xbf737871, v12
	v_sub_f32_e32 v14, v3, v5
	v_sub_f32_e32 v15, v4, v6
	;; [unrolled: 1-line block ×3, first 2 shown]
	v_fmac_f32_e32 v9, 0x3f737871, v12
	v_fmac_f32_e32 v13, 0xbf167918, v14
	v_add_f32_e32 v15, v15, v31
	v_fmac_f32_e32 v9, 0x3f167918, v14
	v_fmac_f32_e32 v13, 0x3e9e377a, v15
	;; [unrolled: 1-line block ×3, first 2 shown]
	v_add_f32_e32 v15, v4, v63
	v_fmac_f32_e32 v17, 0x3e9e377a, v8
	v_fmac_f32_e32 v183, 0x3e9e377a, v8
	v_add_f32_e32 v8, v0, v4
	v_fmac_f32_e32 v0, -0.5, v15
	v_mov_b32_e32 v15, v0
	v_fmac_f32_e32 v15, 0x3f737871, v14
	v_sub_f32_e32 v31, v6, v4
	v_sub_f32_e32 v32, v7, v63
	v_fmac_f32_e32 v0, 0xbf737871, v14
	v_add_f32_e32 v14, v3, v5
	v_fmac_f32_e32 v15, 0xbf167918, v12
	v_add_f32_e32 v31, v31, v32
	v_fmac_f32_e32 v0, 0x3f167918, v12
	v_fma_f32 v14, -0.5, v14, v1
	v_add_f32_e32 v8, v8, v6
	v_fmac_f32_e32 v15, 0x3e9e377a, v31
	v_fmac_f32_e32 v0, 0x3e9e377a, v31
	v_sub_f32_e32 v4, v4, v63
	v_mov_b32_e32 v31, v14
	v_add_f32_e32 v8, v8, v7
	v_fmac_f32_e32 v31, 0x3f737871, v4
	v_sub_f32_e32 v6, v6, v7
	v_sub_f32_e32 v7, v2, v3
	;; [unrolled: 1-line block ×3, first 2 shown]
	v_fmac_f32_e32 v14, 0xbf737871, v4
	v_fmac_f32_e32 v31, 0x3f167918, v6
	v_add_f32_e32 v7, v7, v32
	v_fmac_f32_e32 v14, 0xbf167918, v6
	v_fmac_f32_e32 v31, 0x3e9e377a, v7
	;; [unrolled: 1-line block ×3, first 2 shown]
	v_add_f32_e32 v7, v2, v62
	v_add_f32_e32 v12, v1, v2
	v_fmac_f32_e32 v1, -0.5, v7
	v_add_f32_e32 v12, v12, v3
	v_mov_b32_e32 v7, v1
	v_sub_f32_e32 v2, v3, v2
	v_sub_f32_e32 v3, v5, v62
	v_fmac_f32_e32 v1, 0x3f737871, v6
	v_add_f32_e32 v2, v2, v3
	v_fmac_f32_e32 v1, 0xbf167918, v4
	v_fmac_f32_e32 v7, 0xbf737871, v6
	;; [unrolled: 1-line block ×4, first 2 shown]
	v_mul_f32_e32 v4, 0xbf737871, v1
	v_mul_f32_e32 v1, 0xbe9e377a, v1
	v_fmac_f32_e32 v4, 0xbe9e377a, v0
	v_fmac_f32_e32 v1, 0x3f737871, v0
	v_mul_f32_e32 v0, 0xbf4f1bbd, v14
	v_fmac_f32_e32 v0, 0x3f167918, v9
	v_add_f32_e32 v112, v91, v38
	v_sub_f32_e32 v114, v91, v38
	v_add_f32_e32 v97, v28, v0
	v_sub_f32_e32 v91, v28, v0
	v_add_f32_e32 v0, v176, v50
	v_mul_f32_e32 v36, 0xbf737871, v37
	v_fmac_f32_e32 v7, 0x3e9e377a, v2
	v_mul_f32_e32 v2, 0xbf167918, v31
	v_add_f32_e32 v0, v0, v52
	v_fmac_f32_e32 v36, 0x3e9e377a, v33
	v_fmac_f32_e32 v2, 0x3f4f1bbd, v13
	v_mul_f32_e32 v3, 0xbf737871, v7
	v_add_f32_e32 v0, v0, v54
	v_add_f32_e32 v110, v92, v36
	v_sub_f32_e32 v184, v92, v36
	v_add_f32_e32 v108, v27, v2
	v_fmac_f32_e32 v3, 0x3e9e377a, v15
	v_sub_f32_e32 v92, v27, v2
	v_add_f32_e32 v2, v0, v55
	v_add_f32_e32 v0, v52, v54
	;; [unrolled: 1-line block ×4, first 2 shown]
	v_mul_f32_e32 v5, 0xbf167918, v14
	v_mul_f32_e32 v6, 0x3f4f1bbd, v31
	v_sub_f32_e32 v94, v30, v3
	v_fma_f32 v3, -0.5, v0, v176
	v_add_f32_e32 v104, v88, v39
	v_sub_f32_e32 v178, v88, v39
	v_add_f32_e32 v102, v29, v4
	v_fmac_f32_e32 v5, 0xbf4f1bbd, v9
	v_fmac_f32_e32 v6, 0x3f167918, v13
	v_sub_f32_e32 v88, v29, v4
	v_sub_f32_e32 v0, v48, v53
	v_mov_b32_e32 v4, v3
	v_add_f32_e32 v190, v90, v34
	v_sub_f32_e32 v180, v90, v34
	v_add_f32_e32 v96, v18, v5
	v_add_f32_e32 v109, v19, v6
	;; [unrolled: 1-line block ×3, first 2 shown]
	v_sub_f32_e32 v90, v18, v5
	v_sub_f32_e32 v93, v19, v6
	;; [unrolled: 1-line block ×3, first 2 shown]
	v_fmac_f32_e32 v4, 0xbf737871, v0
	v_sub_f32_e32 v1, v49, v51
	v_sub_f32_e32 v5, v50, v52
	;; [unrolled: 1-line block ×3, first 2 shown]
	v_fmac_f32_e32 v3, 0x3f737871, v0
	v_fmac_f32_e32 v4, 0xbf167918, v1
	v_add_f32_e32 v5, v5, v6
	v_fmac_f32_e32 v3, 0x3f167918, v1
	v_fmac_f32_e32 v4, 0x3e9e377a, v5
	;; [unrolled: 1-line block ×3, first 2 shown]
	v_add_f32_e32 v5, v50, v55
	v_fma_f32 v5, -0.5, v5, v176
	v_mov_b32_e32 v6, v5
	v_mul_f32_e32 v7, 0x3e9e377a, v7
	v_fmac_f32_e32 v6, 0x3f737871, v1
	v_fmac_f32_e32 v5, 0xbf737871, v1
	v_add_f32_e32 v8, v8, v63
	v_fmac_f32_e32 v7, 0x3f737871, v15
	v_fmac_f32_e32 v6, 0xbf167918, v0
	;; [unrolled: 1-line block ×3, first 2 shown]
	v_add_f32_e32 v0, v177, v48
	v_add_f32_e32 v191, v95, v35
	v_sub_f32_e32 v181, v95, v35
	v_add_f32_e32 v106, v16, v8
	v_add_f32_e32 v101, v17, v7
	v_sub_f32_e32 v98, v16, v8
	v_sub_f32_e32 v95, v17, v7
	;; [unrolled: 1-line block ×4, first 2 shown]
	v_add_f32_e32 v0, v0, v49
	v_add_f32_e32 v7, v7, v8
	;; [unrolled: 1-line block ×3, first 2 shown]
	v_fmac_f32_e32 v6, 0x3e9e377a, v7
	v_fmac_f32_e32 v5, 0x3e9e377a, v7
	v_add_f32_e32 v7, v0, v53
	v_add_f32_e32 v0, v49, v51
	v_fma_f32 v8, -0.5, v0, v177
	v_add_f32_e32 v12, v12, v62
	v_sub_f32_e32 v0, v50, v55
	v_mov_b32_e32 v9, v8
	v_add_f32_e32 v107, v26, v12
	v_sub_f32_e32 v99, v26, v12
	v_fmac_f32_e32 v9, 0x3f737871, v0
	v_sub_f32_e32 v1, v52, v54
	v_sub_f32_e32 v12, v48, v49
	;; [unrolled: 1-line block ×3, first 2 shown]
	v_fmac_f32_e32 v8, 0xbf737871, v0
	v_fmac_f32_e32 v9, 0x3f167918, v1
	v_add_f32_e32 v12, v12, v13
	v_fmac_f32_e32 v8, 0xbf167918, v1
	v_fmac_f32_e32 v9, 0x3e9e377a, v12
	;; [unrolled: 1-line block ×3, first 2 shown]
	v_add_f32_e32 v12, v48, v53
	v_fmac_f32_e32 v177, -0.5, v12
	v_mov_b32_e32 v12, v177
	v_fmac_f32_e32 v12, 0xbf737871, v1
	v_fmac_f32_e32 v177, 0x3f737871, v1
	v_fmac_f32_e32 v12, 0x3f167918, v0
	v_fmac_f32_e32 v177, 0xbf167918, v0
	v_add_f32_e32 v0, v10, v22
	v_sub_f32_e32 v13, v49, v48
	v_sub_f32_e32 v14, v51, v53
	v_add_f32_e32 v0, v0, v24
	v_add_f32_e32 v13, v13, v14
	v_add_f32_e32 v0, v0, v25
	v_fmac_f32_e32 v12, 0x3e9e377a, v13
	v_fmac_f32_e32 v177, 0x3e9e377a, v13
	v_add_f32_e32 v13, v0, v61
	v_add_f32_e32 v0, v24, v25
	v_fma_f32 v14, -0.5, v0, v10
	v_sub_f32_e32 v0, v20, v60
	v_mov_b32_e32 v15, v14
	v_fmac_f32_e32 v15, 0xbf737871, v0
	v_sub_f32_e32 v1, v21, v23
	v_sub_f32_e32 v16, v22, v24
	;; [unrolled: 1-line block ×3, first 2 shown]
	v_fmac_f32_e32 v14, 0x3f737871, v0
	v_fmac_f32_e32 v15, 0xbf167918, v1
	v_add_f32_e32 v16, v16, v17
	v_fmac_f32_e32 v14, 0x3f167918, v1
	v_fmac_f32_e32 v15, 0x3e9e377a, v16
	;; [unrolled: 1-line block ×3, first 2 shown]
	v_add_f32_e32 v16, v22, v61
	v_fmac_f32_e32 v10, -0.5, v16
	v_mov_b32_e32 v16, v10
	v_fmac_f32_e32 v16, 0x3f737871, v1
	v_fmac_f32_e32 v10, 0xbf737871, v1
	;; [unrolled: 1-line block ×4, first 2 shown]
	v_add_f32_e32 v0, v11, v20
	v_sub_f32_e32 v17, v24, v22
	v_sub_f32_e32 v18, v25, v61
	v_add_f32_e32 v0, v0, v21
	v_add_f32_e32 v17, v17, v18
	;; [unrolled: 1-line block ×3, first 2 shown]
	v_fmac_f32_e32 v16, 0x3e9e377a, v17
	v_fmac_f32_e32 v10, 0x3e9e377a, v17
	v_add_f32_e32 v17, v0, v60
	v_add_f32_e32 v0, v21, v23
	v_fma_f32 v18, -0.5, v0, v11
	v_sub_f32_e32 v0, v22, v61
	v_mov_b32_e32 v19, v18
	v_fmac_f32_e32 v19, 0x3f737871, v0
	v_sub_f32_e32 v1, v24, v25
	v_sub_f32_e32 v22, v20, v21
	;; [unrolled: 1-line block ×3, first 2 shown]
	v_fmac_f32_e32 v18, 0xbf737871, v0
	v_fmac_f32_e32 v19, 0x3f167918, v1
	v_add_f32_e32 v22, v22, v24
	v_fmac_f32_e32 v18, 0xbf167918, v1
	v_fmac_f32_e32 v19, 0x3e9e377a, v22
	;; [unrolled: 1-line block ×3, first 2 shown]
	v_add_f32_e32 v22, v20, v60
	v_fmac_f32_e32 v11, -0.5, v22
	v_mov_b32_e32 v22, v11
	v_fmac_f32_e32 v22, 0xbf737871, v1
	v_fmac_f32_e32 v11, 0x3f737871, v1
	;; [unrolled: 1-line block ×4, first 2 shown]
	v_add_f32_e32 v0, v2, v13
	v_sub_f32_e32 v62, v2, v13
	buffer_load_dword v2, off, s[24:27], 0 offset:316 ; 4-byte Folded Reload
	s_waitcnt vmcnt(0)
	ds_write2_b64 v2, v[188:189], v[190:191] offset1:3
	ds_write2_b64 v2, v[110:111], v[112:113] offset0:6 offset1:9
	ds_write2_b64 v2, v[104:105], v[186:187] offset0:12 offset1:15
	;; [unrolled: 1-line block ×4, first 2 shown]
	buffer_load_dword v2, off, s[24:27], 0 offset:312 ; 4-byte Folded Reload
	s_waitcnt vmcnt(0)
	ds_write2_b64 v2, v[106:107], v[108:109] offset1:3
	ds_write2_b64 v2, v[100:101], v[102:103] offset0:6 offset1:9
	ds_write2_b64 v2, v[96:97], v[98:99] offset0:12 offset1:15
	;; [unrolled: 1-line block ×4, first 2 shown]
	buffer_load_dword v2, off, s[24:27], 0 offset:296 ; 4-byte Folded Reload
	v_sub_f32_e32 v20, v21, v20
	v_sub_f32_e32 v21, v23, v60
	v_add_f32_e32 v20, v20, v21
	v_fmac_f32_e32 v11, 0x3e9e377a, v20
	v_fmac_f32_e32 v22, 0x3e9e377a, v20
	v_mul_f32_e32 v20, 0xbf167918, v19
	v_mul_f32_e32 v23, 0xbf737871, v11
	;; [unrolled: 1-line block ×4, first 2 shown]
	v_fmac_f32_e32 v20, 0x3f4f1bbd, v15
	v_mul_f32_e32 v21, 0xbf737871, v22
	v_fmac_f32_e32 v23, 0xbe9e377a, v10
	v_mul_f32_e32 v24, 0xbf167918, v18
	;; [unrolled: 2-line block ×4, first 2 shown]
	v_fmac_f32_e32 v21, 0x3e9e377a, v16
	v_fmac_f32_e32 v24, 0xbf4f1bbd, v14
	;; [unrolled: 1-line block ×4, first 2 shown]
	v_add_f32_e32 v86, v4, v20
	v_add_f32_e32 v52, v3, v24
	;; [unrolled: 1-line block ×5, first 2 shown]
	v_sub_f32_e32 v54, v4, v20
	v_sub_f32_e32 v60, v6, v21
	;; [unrolled: 1-line block ×9, first 2 shown]
	v_add_u32_e32 v113, 0x2800, v84
	v_add_f32_e32 v76, v6, v21
	v_add_f32_e32 v78, v5, v23
	;; [unrolled: 1-line block ×4, first 2 shown]
	s_waitcnt vmcnt(0)
	ds_write2_b64 v2, v[0:1], v[86:87] offset1:3
	ds_write2_b64 v2, v[76:77], v[78:79] offset0:6 offset1:9
	ds_write2_b64 v2, v[52:53], v[62:63] offset0:12 offset1:15
	;; [unrolled: 1-line block ×4, first 2 shown]
	s_waitcnt lgkmcnt(0)
	s_barrier
	ds_read2_b64 v[52:55], v84 offset1:90
	ds_read2_b64 v[48:51], v213 offset0:52 offset1:142
	ds_read2_b64 v[0:3], v208 offset0:28 offset1:118
	;; [unrolled: 1-line block ×14, first 2 shown]
	buffer_load_dword v14, off, s[24:27], 0 offset:452 ; 4-byte Folded Reload
	buffer_load_dword v15, off, s[24:27], 0 offset:456 ; 4-byte Folded Reload
	buffer_load_dword v16, off, s[24:27], 0 offset:460 ; 4-byte Folded Reload
	buffer_load_dword v17, off, s[24:27], 0 offset:464 ; 4-byte Folded Reload
	s_waitcnt lgkmcnt(10)
	v_mul_f32_e32 v18, v233, v7
	s_waitcnt lgkmcnt(8)
	v_mul_f32_e32 v20, v237, v11
	v_fmac_f32_e32 v20, v236, v10
	v_fmac_f32_e32 v18, v232, v6
	s_waitcnt lgkmcnt(6)
	v_mul_f32_e32 v21, v255, v41
	v_fmac_f32_e32 v21, v254, v40
	v_mov_b32_e32 v115, v44
	v_mov_b32_e32 v112, v45
	v_mov_b32_e32 v114, v46
	v_mov_b32_e32 v111, v47
	s_waitcnt vmcnt(0)
	v_mul_f32_e32 v103, v17, v1
	v_mul_f32_e32 v12, v15, v51
	v_mul_f32_e32 v13, v15, v50
	v_fmac_f32_e32 v103, v16, v0
	v_mul_f32_e32 v0, v17, v0
	v_fmac_f32_e32 v12, v14, v50
	v_fma_f32 v13, v14, v51, -v13
	v_fma_f32 v78, v16, v1, -v0
	buffer_load_dword v14, off, s[24:27], 0 offset:436 ; 4-byte Folded Reload
	buffer_load_dword v15, off, s[24:27], 0 offset:440 ; 4-byte Folded Reload
	;; [unrolled: 1-line block ×4, first 2 shown]
	s_waitcnt lgkmcnt(4)
	v_mul_f32_e32 v1, v223, v85
	v_fma_f32 v1, v222, v86, -v1
	s_waitcnt vmcnt(2)
	v_mul_f32_e32 v0, v15, v28
	v_mul_f32_e32 v50, v15, v29
	v_fma_f32 v22, v14, v29, -v0
	s_waitcnt vmcnt(0)
	v_mul_f32_e32 v104, v17, v5
	v_mul_f32_e32 v0, v17, v4
	v_fmac_f32_e32 v50, v14, v28
	v_fmac_f32_e32 v104, v16, v4
	v_fma_f32 v79, v16, v5, -v0
	buffer_load_dword v14, off, s[24:27], 0 offset:272 ; 4-byte Folded Reload
	buffer_load_dword v15, off, s[24:27], 0 offset:276 ; 4-byte Folded Reload
	;; [unrolled: 1-line block ×4, first 2 shown]
	s_waitcnt vmcnt(2)
	v_mul_f32_e32 v0, v15, v32
	v_mul_f32_e32 v51, v15, v33
	v_fma_f32 v23, v14, v33, -v0
	s_waitcnt vmcnt(0)
	v_mul_f32_e32 v105, v17, v9
	v_mul_f32_e32 v0, v17, v8
	v_fmac_f32_e32 v51, v14, v32
	v_fmac_f32_e32 v105, v16, v8
	v_fma_f32 v101, v16, v9, -v0
	buffer_load_dword v14, off, s[24:27], 0 offset:256 ; 4-byte Folded Reload
	buffer_load_dword v15, off, s[24:27], 0 offset:260 ; 4-byte Folded Reload
	buffer_load_dword v16, off, s[24:27], 0 offset:264 ; 4-byte Folded Reload
	buffer_load_dword v17, off, s[24:27], 0 offset:268 ; 4-byte Folded Reload
	buffer_load_dword v4, off, s[24:27], 0 offset:248 ; 4-byte Folded Reload
	buffer_load_dword v5, off, s[24:27], 0 offset:252 ; 4-byte Folded Reload
	buffer_load_dword v28, off, s[24:27], 0 offset:288 ; 4-byte Folded Reload
	buffer_load_dword v29, off, s[24:27], 0 offset:292 ; 4-byte Folded Reload
	v_mul_f32_e32 v8, v227, v88
	v_fmac_f32_e32 v8, v226, v87
	s_waitcnt lgkmcnt(1)
	v_mul_f32_e32 v9, v253, v98
	v_fmac_f32_e32 v9, v252, v97
	v_sub_f32_e32 v33, v104, v103
	s_waitcnt vmcnt(6)
	v_mul_f32_e32 v0, v15, v36
	v_fma_f32 v24, v14, v37, -v0
	s_waitcnt vmcnt(4)
	v_mul_f32_e32 v106, v17, v39
	v_mul_f32_e32 v0, v17, v38
	v_fmac_f32_e32 v106, v16, v38
	v_fma_f32 v102, v16, v39, -v0
	v_mul_f32_e32 v16, v225, v3
	v_mul_f32_e32 v76, v15, v37
	v_fmac_f32_e32 v16, v224, v2
	v_mul_f32_e32 v2, v225, v2
	v_fmac_f32_e32 v76, v14, v36
	s_waitcnt vmcnt(2)
	v_mul_f32_e32 v77, v5, v110
	v_mul_f32_e32 v0, v5, v109
	v_fma_f32 v14, v224, v3, -v2
	v_mul_f32_e32 v2, v231, v89
	v_mul_f32_e32 v3, v233, v6
	v_fmac_f32_e32 v77, v4, v109
	v_fma_f32 v25, v4, v110, -v0
	v_mul_f32_e32 v4, v231, v90
	v_fma_f32 v2, v230, v90, -v2
	v_fma_f32 v15, v232, v7, -v3
	v_mul_f32_e32 v5, v237, v10
	v_mul_f32_e32 v7, v255, v40
	;; [unrolled: 1-line block ×3, first 2 shown]
	v_fma_f32 v17, v236, v11, -v5
	v_fma_f32 v19, v254, v41, -v7
	s_waitcnt vmcnt(0) lgkmcnt(0)
	v_mul_f32_e32 v11, v29, v61
	v_mul_f32_e32 v7, v29, v60
	;; [unrolled: 1-line block ×3, first 2 shown]
	v_fmac_f32_e32 v90, v228, v26
	v_mul_f32_e32 v26, v229, v26
	v_fmac_f32_e32 v11, v28, v60
	v_fma_f32 v7, v28, v61, -v7
	v_fma_f32 v10, v226, v88, -v10
	;; [unrolled: 1-line block ×3, first 2 shown]
	buffer_load_dword v27, off, s[24:27], 0 offset:300 ; 4-byte Folded Reload
	buffer_load_dword v28, off, s[24:27], 0 offset:304 ; 4-byte Folded Reload
	v_mul_f32_e32 v0, v223, v86
	v_mul_f32_e32 v26, v245, v91
	v_fmac_f32_e32 v0, v222, v85
	v_fma_f32 v85, v244, v92, -v26
	v_mul_f32_e32 v26, v247, v30
	v_mul_f32_e32 v86, v245, v92
	v_fma_f32 v92, v246, v31, -v26
	v_mul_f32_e32 v26, v241, v95
	v_fmac_f32_e32 v4, v230, v89
	v_mul_f32_e32 v89, v241, v96
	v_fma_f32 v87, v240, v96, -v26
	v_mul_f32_e32 v26, v243, v34
	v_fmac_f32_e32 v89, v240, v95
	v_fma_f32 v95, v242, v35, -v26
	v_mul_f32_e32 v26, v249, v99
	v_mul_f32_e32 v6, v235, v94
	v_fmac_f32_e32 v86, v244, v91
	v_fma_f32 v91, v248, v100, -v26
	v_mul_f32_e32 v26, v251, v107
	v_fmac_f32_e32 v6, v234, v93
	v_mul_f32_e32 v3, v235, v93
	v_mul_f32_e32 v5, v253, v97
	v_mul_f32_e32 v93, v249, v100
	v_fma_f32 v97, v250, v108, -v26
	v_fmac_f32_e32 v93, v248, v99
	v_fma_f32 v3, v234, v94, -v3
	v_mul_f32_e32 v94, v247, v31
	v_sub_f32_e32 v29, v78, v102
	v_fmac_f32_e32 v94, v246, v30
	v_sub_f32_e32 v30, v79, v101
	v_sub_f32_e32 v31, v103, v104
	;; [unrolled: 1-line block ×3, first 2 shown]
	v_add_f32_e32 v31, v31, v32
	v_mul_f32_e32 v96, v243, v35
	v_fmac_f32_e32 v96, v242, v34
	v_sub_f32_e32 v34, v105, v106
	v_add_f32_e32 v33, v33, v34
	v_sub_f32_e32 v35, v104, v105
	v_sub_f32_e32 v36, v78, v79
	;; [unrolled: 1-line block ×3, first 2 shown]
	v_add_f32_e32 v36, v36, v37
	v_sub_f32_e32 v37, v101, v102
	v_sub_f32_e32 v38, v23, v24
	;; [unrolled: 1-line block ×4, first 2 shown]
	v_add_f32_e32 v39, v39, v40
	v_sub_f32_e32 v40, v51, v50
	v_sub_f32_e32 v41, v76, v77
	v_add_f32_e32 v40, v40, v41
	v_sub_f32_e32 v46, v25, v24
	v_fma_f32 v5, v252, v98, -v5
	v_mul_f32_e32 v98, v251, v108
	v_fmac_f32_e32 v98, v250, v107
	s_waitcnt vmcnt(0)
	s_barrier
	v_mul_f32_e32 v26, v28, v62
	v_fma_f32 v99, v27, v63, -v26
	v_add_f32_e32 v26, v52, v103
	v_add_f32_e32 v26, v26, v104
	v_mul_f32_e32 v100, v28, v63
	v_add_f32_e32 v26, v26, v105
	v_fmac_f32_e32 v100, v27, v62
	v_add_f32_e32 v27, v26, v106
	v_add_f32_e32 v26, v104, v105
	v_fma_f32 v26, -0.5, v26, v52
	v_mov_b32_e32 v28, v26
	v_fmac_f32_e32 v28, 0xbf737871, v29
	v_fmac_f32_e32 v26, 0x3f737871, v29
	;; [unrolled: 1-line block ×6, first 2 shown]
	v_add_f32_e32 v31, v103, v106
	v_fma_f32 v31, -0.5, v31, v52
	v_mov_b32_e32 v32, v31
	v_fmac_f32_e32 v32, 0x3f737871, v30
	v_fmac_f32_e32 v31, 0xbf737871, v30
	v_add_f32_e32 v30, v79, v101
	v_fmac_f32_e32 v32, 0xbf167918, v29
	v_fmac_f32_e32 v31, 0x3f167918, v29
	v_fma_f32 v30, -0.5, v30, v53
	v_fmac_f32_e32 v32, 0x3e9e377a, v33
	v_fmac_f32_e32 v31, 0x3e9e377a, v33
	v_sub_f32_e32 v33, v103, v106
	v_mov_b32_e32 v34, v30
	v_fmac_f32_e32 v34, 0x3f737871, v33
	v_fmac_f32_e32 v30, 0xbf737871, v33
	;; [unrolled: 1-line block ×6, first 2 shown]
	v_add_f32_e32 v36, v78, v102
	v_fma_f32 v42, -0.5, v36, v53
	v_mov_b32_e32 v43, v42
	v_fmac_f32_e32 v43, 0xbf737871, v35
	v_sub_f32_e32 v36, v79, v78
	v_fmac_f32_e32 v42, 0x3f737871, v35
	v_add_f32_e32 v35, v51, v76
	v_fmac_f32_e32 v43, 0x3f167918, v33
	v_add_f32_e32 v36, v36, v37
	v_fmac_f32_e32 v42, 0xbf167918, v33
	v_fma_f32 v35, -0.5, v35, v12
	v_fmac_f32_e32 v43, 0x3e9e377a, v36
	v_fmac_f32_e32 v42, 0x3e9e377a, v36
	v_sub_f32_e32 v36, v22, v25
	v_mov_b32_e32 v37, v35
	v_fmac_f32_e32 v37, 0xbf737871, v36
	v_fmac_f32_e32 v35, 0x3f737871, v36
	;; [unrolled: 1-line block ×6, first 2 shown]
	v_add_f32_e32 v39, v50, v77
	v_add_f32_e32 v33, v12, v50
	v_fmac_f32_e32 v12, -0.5, v39
	v_mov_b32_e32 v39, v12
	v_fmac_f32_e32 v39, 0x3f737871, v38
	v_fmac_f32_e32 v12, 0xbf737871, v38
	;; [unrolled: 1-line block ×4, first 2 shown]
	v_add_f32_e32 v36, v13, v22
	v_add_f32_e32 v36, v36, v23
	;; [unrolled: 1-line block ×5, first 2 shown]
	v_fma_f32 v45, -0.5, v36, v13
	v_sub_f32_e32 v36, v50, v77
	v_mov_b32_e32 v41, v45
	v_fmac_f32_e32 v39, 0x3e9e377a, v40
	v_fmac_f32_e32 v12, 0x3e9e377a, v40
	;; [unrolled: 1-line block ×3, first 2 shown]
	v_sub_f32_e32 v38, v51, v76
	v_sub_f32_e32 v40, v22, v23
	v_fmac_f32_e32 v45, 0xbf737871, v36
	v_fmac_f32_e32 v41, 0x3f167918, v38
	v_add_f32_e32 v40, v40, v46
	v_fmac_f32_e32 v45, 0xbf167918, v38
	v_fmac_f32_e32 v41, 0x3e9e377a, v40
	;; [unrolled: 1-line block ×3, first 2 shown]
	v_add_f32_e32 v40, v22, v25
	v_fmac_f32_e32 v13, -0.5, v40
	v_mov_b32_e32 v46, v13
	v_sub_f32_e32 v22, v23, v22
	v_sub_f32_e32 v23, v24, v25
	v_fmac_f32_e32 v13, 0x3f737871, v38
	v_add_f32_e32 v22, v22, v23
	v_fmac_f32_e32 v13, 0xbf167918, v36
	v_fmac_f32_e32 v46, 0xbf737871, v38
	;; [unrolled: 1-line block ×4, first 2 shown]
	v_mul_f32_e32 v24, 0xbf737871, v13
	v_mul_f32_e32 v47, 0x3f4f1bbd, v41
	;; [unrolled: 1-line block ×3, first 2 shown]
	v_add_f32_e32 v29, v53, v78
	v_fmac_f32_e32 v46, 0x3e9e377a, v22
	v_fmac_f32_e32 v47, 0x3f167918, v37
	;; [unrolled: 1-line block ×3, first 2 shown]
	v_add_f32_e32 v29, v29, v79
	v_mul_f32_e32 v22, 0xbf167918, v41
	v_mul_f32_e32 v23, 0xbf737871, v46
	v_add_f32_e32 v79, v34, v47
	v_add_f32_e32 v41, v42, v13
	v_sub_f32_e32 v53, v34, v47
	v_sub_f32_e32 v47, v42, v13
	v_add_f32_e32 v13, v18, v20
	v_fmac_f32_e32 v22, 0x3f4f1bbd, v37
	v_fmac_f32_e32 v23, 0x3e9e377a, v39
	v_mul_f32_e32 v25, 0xbf167918, v45
	v_fma_f32 v13, -0.5, v13, v54
	v_add_f32_e32 v78, v28, v22
	v_add_f32_e32 v38, v32, v23
	v_fmac_f32_e32 v24, 0xbe9e377a, v12
	v_fmac_f32_e32 v25, 0xbf4f1bbd, v35
	v_sub_f32_e32 v52, v28, v22
	v_sub_f32_e32 v60, v32, v23
	;; [unrolled: 1-line block ×3, first 2 shown]
	v_mov_b32_e32 v23, v13
	v_add_f32_e32 v33, v33, v51
	v_add_f32_e32 v40, v31, v24
	;; [unrolled: 1-line block ×3, first 2 shown]
	v_mul_f32_e32 v51, 0x3e9e377a, v46
	v_sub_f32_e32 v46, v31, v24
	v_sub_f32_e32 v50, v26, v25
	v_fmac_f32_e32 v23, 0xbf737871, v22
	v_sub_f32_e32 v24, v15, v17
	v_sub_f32_e32 v25, v16, v18
	;; [unrolled: 1-line block ×3, first 2 shown]
	v_fmac_f32_e32 v13, 0x3f737871, v22
	v_add_f32_e32 v33, v33, v76
	v_fmac_f32_e32 v23, 0xbf167918, v24
	v_add_f32_e32 v25, v25, v26
	;; [unrolled: 2-line block ×3, first 2 shown]
	v_fmac_f32_e32 v23, 0x3e9e377a, v25
	v_fmac_f32_e32 v13, 0x3e9e377a, v25
	v_add_f32_e32 v25, v16, v21
	v_add_f32_e32 v76, v27, v33
	v_sub_f32_e32 v62, v27, v33
	v_fma_f32 v27, -0.5, v25, v54
	v_mov_b32_e32 v28, v27
	v_fmac_f32_e32 v28, 0x3f737871, v24
	v_fmac_f32_e32 v27, 0xbf737871, v24
	v_mul_f32_e32 v12, 0xbf4f1bbd, v45
	v_fmac_f32_e32 v28, 0xbf167918, v22
	v_fmac_f32_e32 v27, 0x3f167918, v22
	v_add_f32_e32 v22, v55, v14
	v_add_f32_e32 v29, v29, v101
	v_fmac_f32_e32 v51, 0x3f737871, v39
	v_fmac_f32_e32 v12, 0x3f167918, v35
	v_add_f32_e32 v22, v22, v15
	v_add_f32_e32 v29, v29, v102
	;; [unrolled: 1-line block ×4, first 2 shown]
	v_sub_f32_e32 v61, v43, v51
	v_sub_f32_e32 v51, v30, v12
	v_add_f32_e32 v12, v54, v16
	v_add_f32_e32 v22, v22, v17
	;; [unrolled: 1-line block ×3, first 2 shown]
	v_sub_f32_e32 v63, v29, v44
	v_add_f32_e32 v12, v12, v18
	v_add_f32_e32 v29, v22, v19
	;; [unrolled: 1-line block ×4, first 2 shown]
	v_fma_f32 v54, -0.5, v22, v55
	v_add_f32_e32 v12, v12, v21
	v_sub_f32_e32 v25, v18, v16
	v_sub_f32_e32 v26, v20, v21
	;; [unrolled: 1-line block ×3, first 2 shown]
	v_mov_b32_e32 v21, v54
	v_fmac_f32_e32 v21, 0x3f737871, v16
	v_sub_f32_e32 v18, v18, v20
	v_sub_f32_e32 v20, v14, v15
	v_sub_f32_e32 v22, v19, v17
	v_fmac_f32_e32 v54, 0xbf737871, v16
	v_fmac_f32_e32 v21, 0x3f167918, v18
	v_add_f32_e32 v20, v20, v22
	v_fmac_f32_e32 v54, 0xbf167918, v18
	v_fmac_f32_e32 v21, 0x3e9e377a, v20
	;; [unrolled: 1-line block ×3, first 2 shown]
	v_add_f32_e32 v20, v14, v19
	v_fmac_f32_e32 v55, -0.5, v20
	v_sub_f32_e32 v14, v15, v14
	v_sub_f32_e32 v15, v17, v19
	v_mov_b32_e32 v101, v55
	v_add_f32_e32 v14, v14, v15
	v_add_f32_e32 v15, v6, v9
	v_fmac_f32_e32 v101, 0xbf737871, v18
	v_fmac_f32_e32 v55, 0x3f737871, v18
	v_fma_f32 v15, -0.5, v15, v0
	v_fmac_f32_e32 v101, 0x3f167918, v16
	v_fmac_f32_e32 v55, 0xbf167918, v16
	v_sub_f32_e32 v16, v2, v7
	v_mov_b32_e32 v17, v15
	v_fmac_f32_e32 v17, 0xbf737871, v16
	v_sub_f32_e32 v18, v3, v5
	v_sub_f32_e32 v19, v4, v6
	;; [unrolled: 1-line block ×3, first 2 shown]
	v_fmac_f32_e32 v15, 0x3f737871, v16
	v_fmac_f32_e32 v17, 0xbf167918, v18
	v_add_f32_e32 v19, v19, v20
	v_fmac_f32_e32 v15, 0x3f167918, v18
	v_fmac_f32_e32 v17, 0x3e9e377a, v19
	;; [unrolled: 1-line block ×3, first 2 shown]
	v_add_f32_e32 v19, v4, v11
	v_fmac_f32_e32 v101, 0x3e9e377a, v14
	v_fmac_f32_e32 v55, 0x3e9e377a, v14
	v_add_f32_e32 v14, v0, v4
	v_fmac_f32_e32 v0, -0.5, v19
	v_mov_b32_e32 v19, v0
	v_add_f32_e32 v14, v14, v6
	v_fmac_f32_e32 v19, 0x3f737871, v18
	v_fmac_f32_e32 v0, 0xbf737871, v18
	v_add_f32_e32 v18, v3, v5
	v_add_f32_e32 v14, v14, v9
	v_sub_f32_e32 v20, v6, v4
	v_sub_f32_e32 v22, v9, v11
	v_fma_f32 v18, -0.5, v18, v1
	v_add_f32_e32 v14, v14, v11
	v_fmac_f32_e32 v19, 0xbf167918, v16
	v_add_f32_e32 v20, v20, v22
	v_fmac_f32_e32 v0, 0x3f167918, v16
	v_sub_f32_e32 v4, v4, v11
	v_mov_b32_e32 v11, v18
	v_fmac_f32_e32 v19, 0x3e9e377a, v20
	v_fmac_f32_e32 v0, 0x3e9e377a, v20
	;; [unrolled: 1-line block ×3, first 2 shown]
	v_sub_f32_e32 v6, v6, v9
	v_sub_f32_e32 v9, v2, v3
	;; [unrolled: 1-line block ×3, first 2 shown]
	v_fmac_f32_e32 v18, 0xbf737871, v4
	v_fmac_f32_e32 v11, 0x3f167918, v6
	v_add_f32_e32 v9, v9, v20
	v_fmac_f32_e32 v18, 0xbf167918, v6
	v_fmac_f32_e32 v11, 0x3e9e377a, v9
	;; [unrolled: 1-line block ×3, first 2 shown]
	v_add_f32_e32 v9, v2, v7
	v_add_f32_e32 v16, v1, v2
	v_fmac_f32_e32 v1, -0.5, v9
	v_add_f32_e32 v16, v16, v3
	v_mov_b32_e32 v9, v1
	v_sub_f32_e32 v2, v3, v2
	v_sub_f32_e32 v3, v5, v7
	v_fmac_f32_e32 v1, 0x3f737871, v6
	v_add_f32_e32 v2, v2, v3
	v_fmac_f32_e32 v1, 0xbf167918, v4
	v_fmac_f32_e32 v9, 0xbf737871, v6
	;; [unrolled: 1-line block ×3, first 2 shown]
	v_add_f32_e32 v25, v25, v26
	v_fmac_f32_e32 v9, 0x3f167918, v4
	v_mul_f32_e32 v4, 0xbf737871, v1
	v_mul_f32_e32 v6, 0x3f4f1bbd, v11
	;; [unrolled: 1-line block ×3, first 2 shown]
	v_fmac_f32_e32 v27, 0x3e9e377a, v25
	v_fmac_f32_e32 v9, 0x3e9e377a, v2
	;; [unrolled: 1-line block ×5, first 2 shown]
	v_mul_f32_e32 v2, 0xbf167918, v11
	v_mul_f32_e32 v3, 0xbf737871, v9
	v_add_f32_e32 v34, v27, v4
	v_add_f32_e32 v45, v21, v6
	;; [unrolled: 1-line block ×3, first 2 shown]
	v_sub_f32_e32 v20, v27, v4
	v_sub_f32_e32 v27, v21, v6
	;; [unrolled: 1-line block ×3, first 2 shown]
	v_add_f32_e32 v1, v94, v96
	v_fmac_f32_e32 v28, 0x3e9e377a, v25
	v_add_f32_e32 v16, v16, v5
	v_fmac_f32_e32 v2, 0x3f4f1bbd, v17
	v_fmac_f32_e32 v3, 0x3e9e377a, v19
	v_mul_f32_e32 v5, 0xbf167918, v18
	v_fma_f32 v1, -0.5, v1, v48
	v_add_f32_e32 v44, v23, v2
	v_add_f32_e32 v32, v28, v3
	v_fmac_f32_e32 v5, 0xbf4f1bbd, v15
	v_sub_f32_e32 v26, v23, v2
	v_sub_f32_e32 v28, v28, v3
	;; [unrolled: 1-line block ×3, first 2 shown]
	v_mov_b32_e32 v3, v1
	v_add_f32_e32 v24, v13, v5
	v_sub_f32_e32 v22, v13, v5
	v_fmac_f32_e32 v3, 0xbf737871, v2
	v_sub_f32_e32 v4, v92, v95
	v_sub_f32_e32 v5, v90, v94
	;; [unrolled: 1-line block ×3, first 2 shown]
	v_fmac_f32_e32 v1, 0x3f737871, v2
	v_add_f32_e32 v16, v16, v7
	v_mul_f32_e32 v7, 0x3e9e377a, v9
	v_fmac_f32_e32 v3, 0xbf167918, v4
	v_add_f32_e32 v5, v5, v6
	v_fmac_f32_e32 v1, 0x3f167918, v4
	v_fmac_f32_e32 v7, 0x3f737871, v19
	v_fmac_f32_e32 v3, 0x3e9e377a, v5
	v_fmac_f32_e32 v1, 0x3e9e377a, v5
	v_add_f32_e32 v5, v90, v98
	v_add_f32_e32 v43, v29, v16
	;; [unrolled: 1-line block ×3, first 2 shown]
	v_sub_f32_e32 v31, v29, v16
	v_sub_f32_e32 v29, v101, v7
	v_fma_f32 v7, -0.5, v5, v48
	v_mov_b32_e32 v9, v7
	v_fmac_f32_e32 v9, 0x3f737871, v4
	v_fmac_f32_e32 v7, 0xbf737871, v4
	;; [unrolled: 1-line block ×4, first 2 shown]
	v_add_f32_e32 v2, v49, v88
	v_add_f32_e32 v2, v2, v92
	v_mul_f32_e32 v0, 0xbf4f1bbd, v18
	v_add_f32_e32 v2, v2, v95
	v_fmac_f32_e32 v0, 0x3f167918, v15
	v_add_f32_e32 v11, v2, v97
	v_add_f32_e32 v2, v92, v95
	;; [unrolled: 1-line block ×3, first 2 shown]
	v_sub_f32_e32 v23, v54, v0
	v_add_f32_e32 v0, v48, v90
	v_sub_f32_e32 v5, v94, v90
	v_sub_f32_e32 v6, v96, v98
	v_fma_f32 v48, -0.5, v2, v49
	v_add_f32_e32 v5, v5, v6
	v_sub_f32_e32 v2, v90, v98
	v_mov_b32_e32 v54, v48
	v_fmac_f32_e32 v9, 0x3e9e377a, v5
	v_fmac_f32_e32 v7, 0x3e9e377a, v5
	;; [unrolled: 1-line block ×3, first 2 shown]
	v_sub_f32_e32 v4, v94, v96
	v_sub_f32_e32 v5, v88, v92
	;; [unrolled: 1-line block ×3, first 2 shown]
	v_fmac_f32_e32 v48, 0xbf737871, v2
	v_fmac_f32_e32 v54, 0x3f167918, v4
	v_add_f32_e32 v5, v5, v6
	v_fmac_f32_e32 v48, 0xbf167918, v4
	v_fmac_f32_e32 v54, 0x3e9e377a, v5
	;; [unrolled: 1-line block ×3, first 2 shown]
	v_add_f32_e32 v5, v88, v97
	v_fmac_f32_e32 v49, -0.5, v5
	v_mov_b32_e32 v55, v49
	v_fmac_f32_e32 v55, 0xbf737871, v4
	v_sub_f32_e32 v5, v92, v88
	v_sub_f32_e32 v6, v95, v97
	v_fmac_f32_e32 v49, 0x3f737871, v4
	v_fmac_f32_e32 v55, 0x3f167918, v2
	v_add_f32_e32 v5, v5, v6
	v_fmac_f32_e32 v49, 0xbf167918, v2
	v_add_f32_e32 v4, v89, v93
	v_fmac_f32_e32 v55, 0x3e9e377a, v5
	v_fmac_f32_e32 v49, 0x3e9e377a, v5
	v_fma_f32 v5, -0.5, v4, v8
	v_sub_f32_e32 v4, v85, v99
	v_mov_b32_e32 v6, v5
	v_add_f32_e32 v42, v12, v14
	v_sub_f32_e32 v30, v12, v14
	v_fmac_f32_e32 v6, 0xbf737871, v4
	v_sub_f32_e32 v12, v87, v91
	v_sub_f32_e32 v13, v86, v89
	;; [unrolled: 1-line block ×3, first 2 shown]
	v_fmac_f32_e32 v5, 0x3f737871, v4
	v_fmac_f32_e32 v6, 0xbf167918, v12
	v_add_f32_e32 v13, v13, v14
	v_fmac_f32_e32 v5, 0x3f167918, v12
	v_fmac_f32_e32 v6, 0x3e9e377a, v13
	v_fmac_f32_e32 v5, 0x3e9e377a, v13
	v_add_f32_e32 v13, v86, v100
	v_add_f32_e32 v2, v8, v86
	v_fmac_f32_e32 v8, -0.5, v13
	v_mov_b32_e32 v13, v8
	v_fmac_f32_e32 v13, 0x3f737871, v12
	v_fmac_f32_e32 v8, 0xbf737871, v12
	;; [unrolled: 1-line block ×4, first 2 shown]
	v_add_f32_e32 v4, v10, v85
	v_add_f32_e32 v4, v4, v87
	;; [unrolled: 1-line block ×5, first 2 shown]
	v_sub_f32_e32 v14, v89, v86
	v_sub_f32_e32 v15, v93, v100
	v_fma_f32 v90, -0.5, v4, v10
	v_add_f32_e32 v14, v14, v15
	v_sub_f32_e32 v4, v86, v100
	v_mov_b32_e32 v15, v90
	v_fmac_f32_e32 v13, 0x3e9e377a, v14
	v_fmac_f32_e32 v8, 0x3e9e377a, v14
	;; [unrolled: 1-line block ×3, first 2 shown]
	v_sub_f32_e32 v12, v89, v93
	v_sub_f32_e32 v14, v85, v87
	;; [unrolled: 1-line block ×3, first 2 shown]
	v_fmac_f32_e32 v90, 0xbf737871, v4
	v_fmac_f32_e32 v15, 0x3f167918, v12
	v_add_f32_e32 v14, v14, v16
	v_fmac_f32_e32 v90, 0xbf167918, v12
	v_fmac_f32_e32 v15, 0x3e9e377a, v14
	;; [unrolled: 1-line block ×3, first 2 shown]
	v_add_f32_e32 v14, v85, v99
	v_fmac_f32_e32 v10, -0.5, v14
	v_sub_f32_e32 v14, v87, v85
	v_sub_f32_e32 v16, v91, v99
	v_mul_f32_e32 v85, 0xbf167918, v15
	v_mul_f32_e32 v91, 0xbf167918, v90
	;; [unrolled: 1-line block ×3, first 2 shown]
	v_fmac_f32_e32 v85, 0x3f4f1bbd, v6
	v_mul_f32_e32 v92, 0x3f4f1bbd, v15
	v_fmac_f32_e32 v90, 0x3f167918, v5
	v_add_f32_e32 v18, v3, v85
	v_fmac_f32_e32 v91, 0xbf4f1bbd, v5
	v_fmac_f32_e32 v92, 0x3f167918, v6
	v_add_f32_e32 v5, v48, v90
	v_sub_f32_e32 v6, v3, v85
	v_sub_f32_e32 v3, v48, v90
	buffer_load_dword v48, off, s[24:27], 0 offset:324 ; 4-byte Folded Reload
	s_waitcnt vmcnt(0)
	ds_write2_b64 v48, v[76:77], v[78:79] offset1:30
	ds_write2_b64 v48, v[38:39], v[40:41] offset0:60 offset1:90
	ds_write2_b64 v48, v[36:37], v[62:63] offset0:120 offset1:150
	;; [unrolled: 1-line block ×3, first 2 shown]
	buffer_load_dword v36, off, s[24:27], 0 offset:320 ; 4-byte Folded Reload
	v_mov_b32_e32 v86, v10
	v_fmac_f32_e32 v86, 0xbf737871, v12
	v_fmac_f32_e32 v10, 0x3f737871, v12
	v_add_f32_e32 v0, v0, v94
	v_add_f32_e32 v2, v2, v89
	v_fmac_f32_e32 v86, 0x3f167918, v4
	v_add_f32_e32 v14, v14, v16
	v_fmac_f32_e32 v10, 0xbf167918, v4
	v_add_f32_e32 v0, v0, v96
	v_add_f32_e32 v2, v2, v93
	v_fmac_f32_e32 v86, 0x3e9e377a, v14
	v_fmac_f32_e32 v10, 0x3e9e377a, v14
	v_add_f32_e32 v0, v0, v98
	v_add_f32_e32 v2, v2, v100
	v_mul_f32_e32 v87, 0xbf737871, v86
	v_mul_f32_e32 v89, 0xbf737871, v10
	;; [unrolled: 1-line block ×4, first 2 shown]
	v_add_f32_e32 v16, v0, v2
	v_fmac_f32_e32 v87, 0x3e9e377a, v13
	v_fmac_f32_e32 v89, 0xbe9e377a, v8
	v_add_f32_e32 v17, v11, v88
	v_add_f32_e32 v19, v54, v92
	v_fmac_f32_e32 v86, 0x3f737871, v13
	v_fmac_f32_e32 v93, 0x3f737871, v8
	v_add_f32_e32 v12, v9, v87
	v_add_f32_e32 v14, v7, v89
	v_add_f32_e32 v4, v1, v91
	v_add_f32_e32 v13, v55, v86
	v_add_f32_e32 v15, v49, v93
	v_sub_f32_e32 v10, v0, v2
	v_sub_f32_e32 v8, v9, v87
	;; [unrolled: 1-line block ×8, first 2 shown]
	v_add_u32_e32 v95, 0x1c00, v84
	s_waitcnt vmcnt(0)
	ds_write2_b64 v36, v[46:47], v[50:51] offset0:112 offset1:142
	buffer_load_dword v36, off, s[24:27], 0 offset:384 ; 4-byte Folded Reload
	s_waitcnt vmcnt(0)
	ds_write2_b64 v36, v[42:43], v[44:45] offset1:30
	ds_write2_b64 v36, v[32:33], v[34:35] offset0:60 offset1:90
	ds_write2_b64 v36, v[24:25], v[30:31] offset0:120 offset1:150
	;; [unrolled: 1-line block ×3, first 2 shown]
	buffer_load_dword v24, off, s[24:27], 0 offset:328 ; 4-byte Folded Reload
	s_waitcnt vmcnt(0)
	ds_write2_b64 v24, v[20:21], v[22:23] offset0:112 offset1:142
	buffer_load_dword v20, off, s[24:27], 0 offset:388 ; 4-byte Folded Reload
	s_waitcnt vmcnt(0)
	ds_write2_b64 v20, v[16:17], v[18:19] offset1:30
	ds_write2_b64 v20, v[12:13], v[14:15] offset0:60 offset1:90
	ds_write2_b64 v20, v[4:5], v[10:11] offset0:120 offset1:150
	;; [unrolled: 1-line block ×3, first 2 shown]
	buffer_load_dword v4, off, s[24:27], 0 offset:332 ; 4-byte Folded Reload
	s_waitcnt vmcnt(0)
	ds_write2_b64 v4, v[0:1], v[2:3] offset0:112 offset1:142
	s_waitcnt lgkmcnt(0)
	s_barrier
	ds_read2_b64 v[16:19], v84 offset1:90
	ds_read2_b64 v[20:23], v238 offset0:132 offset1:222
	ds_read2_b64 v[24:27], v210 offset0:8 offset1:98
	;; [unrolled: 1-line block ×14, first 2 shown]
	s_waitcnt lgkmcnt(13)
	v_mul_f32_e32 v76, v57, v21
	v_fmac_f32_e32 v76, v56, v20
	v_mul_f32_e32 v20, v57, v20
	v_fma_f32 v20, v56, v21, -v20
	s_waitcnt lgkmcnt(12)
	v_mul_f32_e32 v21, v59, v25
	v_fmac_f32_e32 v21, v58, v24
	v_mul_f32_e32 v24, v59, v24
	v_fma_f32 v24, v58, v25, -v24
	v_mul_f32_e32 v25, v69, v23
	v_fmac_f32_e32 v25, v68, v22
	v_mul_f32_e32 v22, v69, v22
	v_fma_f32 v22, v68, v23, -v22
	v_mul_f32_e32 v23, v71, v27
	v_fmac_f32_e32 v23, v70, v26
	v_mul_f32_e32 v26, v71, v26
	v_fma_f32 v26, v70, v27, -v26
	s_waitcnt lgkmcnt(10)
	v_mul_f32_e32 v27, v65, v29
	v_fmac_f32_e32 v27, v64, v28
	v_mul_f32_e32 v28, v65, v28
	v_fma_f32 v28, v64, v29, -v28
	s_waitcnt lgkmcnt(9)
	v_mul_f32_e32 v29, v67, v33
	v_fmac_f32_e32 v29, v66, v32
	v_mul_f32_e32 v32, v67, v32
	v_fma_f32 v32, v66, v33, -v32
	v_mul_f32_e32 v33, v73, v31
	v_fmac_f32_e32 v33, v72, v30
	v_mul_f32_e32 v30, v73, v30
	v_fma_f32 v30, v72, v31, -v30
	;; [unrolled: 4-line block ×3, first 2 shown]
	s_waitcnt lgkmcnt(7)
	v_mul_f32_e32 v35, v81, v37
	v_fmac_f32_e32 v35, v80, v36
	v_mul_f32_e32 v36, v81, v36
	v_fma_f32 v36, v80, v37, -v36
	s_waitcnt lgkmcnt(6)
	v_mul_f32_e32 v37, v83, v41
	v_fmac_f32_e32 v37, v82, v40
	v_mul_f32_e32 v40, v83, v40
	v_fma_f32 v40, v82, v41, -v40
	v_mul_f32_e32 v41, v117, v39
	v_fmac_f32_e32 v41, v116, v38
	v_mul_f32_e32 v38, v117, v38
	v_fma_f32 v64, v116, v39, -v38
	v_mul_f32_e32 v38, v119, v42
	v_fma_f32 v66, v118, v43, -v38
	s_waitcnt lgkmcnt(4)
	v_mul_f32_e32 v38, v121, v44
	v_fma_f32 v68, v120, v45, -v38
	s_waitcnt lgkmcnt(3)
	v_mul_f32_e32 v38, v123, v48
	v_fma_f32 v70, v122, v49, -v38
	v_mul_f32_e32 v38, v125, v46
	v_fma_f32 v72, v124, v47, -v38
	;; [unrolled: 2-line block ×3, first 2 shown]
	s_waitcnt lgkmcnt(1)
	v_mul_f32_e32 v38, v129, v52
	v_fma_f32 v77, v128, v53, -v38
	s_waitcnt lgkmcnt(0)
	v_mul_f32_e32 v78, v131, v61
	v_mul_f32_e32 v38, v131, v60
	v_fmac_f32_e32 v78, v130, v60
	v_fma_f32 v60, v130, v61, -v38
	v_mul_f32_e32 v38, v133, v54
	v_fma_f32 v79, v132, v55, -v38
	v_mul_f32_e32 v80, v135, v63
	v_mul_f32_e32 v38, v135, v62
	;; [unrolled: 1-line block ×3, first 2 shown]
	v_fmac_f32_e32 v80, v134, v62
	v_fma_f32 v62, v134, v63, -v38
	v_add_f32_e32 v38, v16, v76
	v_fmac_f32_e32 v65, v118, v42
	v_mul_f32_e32 v69, v123, v49
	v_add_f32_e32 v42, v38, v21
	v_add_f32_e32 v38, v76, v21
	v_fmac_f32_e32 v69, v122, v48
	v_mul_f32_e32 v73, v127, v51
	v_fma_f32 v48, -0.5, v38, v16
	v_fmac_f32_e32 v73, v126, v50
	v_sub_f32_e32 v16, v20, v24
	v_mov_b32_e32 v50, v48
	v_fmac_f32_e32 v50, 0xbf5db3d7, v16
	v_fmac_f32_e32 v48, 0x3f5db3d7, v16
	v_add_f32_e32 v16, v17, v20
	v_add_f32_e32 v43, v16, v24
	;; [unrolled: 1-line block ×3, first 2 shown]
	v_fma_f32 v49, -0.5, v16, v17
	v_sub_f32_e32 v16, v76, v21
	v_mov_b32_e32 v51, v49
	v_mul_f32_e32 v75, v129, v53
	v_fmac_f32_e32 v51, 0x3f5db3d7, v16
	v_fmac_f32_e32 v49, 0xbf5db3d7, v16
	v_add_f32_e32 v16, v18, v25
	v_fmac_f32_e32 v75, v128, v52
	v_add_f32_e32 v52, v16, v23
	v_add_f32_e32 v16, v25, v23
	v_mul_f32_e32 v61, v133, v55
	v_fma_f32 v18, -0.5, v16, v18
	v_fmac_f32_e32 v61, v132, v54
	v_sub_f32_e32 v16, v22, v26
	v_mov_b32_e32 v54, v18
	v_fmac_f32_e32 v54, 0xbf5db3d7, v16
	v_fmac_f32_e32 v18, 0x3f5db3d7, v16
	v_add_f32_e32 v16, v19, v22
	v_add_f32_e32 v53, v16, v26
	;; [unrolled: 1-line block ×3, first 2 shown]
	v_fmac_f32_e32 v19, -0.5, v16
	v_sub_f32_e32 v16, v25, v23
	v_mov_b32_e32 v55, v19
	v_fmac_f32_e32 v55, 0x3f5db3d7, v16
	v_fmac_f32_e32 v19, 0xbf5db3d7, v16
	v_add_f32_e32 v16, v12, v27
	v_add_f32_e32 v56, v16, v29
	;; [unrolled: 1-line block ×3, first 2 shown]
	v_fma_f32 v38, -0.5, v16, v12
	v_sub_f32_e32 v12, v28, v32
	v_mov_b32_e32 v58, v38
	v_fmac_f32_e32 v58, 0xbf5db3d7, v12
	v_fmac_f32_e32 v38, 0x3f5db3d7, v12
	v_add_f32_e32 v12, v13, v28
	v_add_f32_e32 v57, v12, v32
	;; [unrolled: 1-line block ×3, first 2 shown]
	v_fma_f32 v39, -0.5, v12, v13
	v_sub_f32_e32 v12, v27, v29
	v_mov_b32_e32 v59, v39
	v_fmac_f32_e32 v59, 0x3f5db3d7, v12
	v_fmac_f32_e32 v39, 0xbf5db3d7, v12
	s_barrier
	ds_write_b64 v84, v[50:51] offset:2400
	ds_write_b64 v84, v[48:49] offset:4800
	ds_write2_b64 v84, v[42:43], v[52:53] offset1:90
	ds_write_b64 v84, v[56:57] offset:1440
	ds_write2_b64 v114, v[54:55], v[58:59] offset0:134 offset1:224
	ds_write2_b64 v207, v[18:19], v[38:39] offset0:50 offset1:140
	buffer_load_dword v18, off, s[24:27], 0 offset:392 ; 4-byte Folded Reload
	v_mul_f32_e32 v67, v121, v45
	v_add_f32_e32 v12, v14, v33
	v_fmac_f32_e32 v67, v120, v44
	v_add_f32_e32 v44, v12, v31
	v_add_f32_e32 v12, v33, v31
	v_mul_f32_e32 v71, v125, v47
	v_fma_f32 v14, -0.5, v12, v14
	v_fmac_f32_e32 v71, v124, v46
	v_sub_f32_e32 v12, v30, v34
	v_mov_b32_e32 v46, v14
	v_fmac_f32_e32 v46, 0xbf5db3d7, v12
	v_fmac_f32_e32 v14, 0x3f5db3d7, v12
	v_add_f32_e32 v12, v15, v30
	v_add_f32_e32 v45, v12, v34
	;; [unrolled: 1-line block ×3, first 2 shown]
	v_fmac_f32_e32 v15, -0.5, v12
	v_sub_f32_e32 v12, v33, v31
	v_mov_b32_e32 v47, v15
	v_fmac_f32_e32 v47, 0x3f5db3d7, v12
	v_fmac_f32_e32 v15, 0xbf5db3d7, v12
	v_add_f32_e32 v12, v8, v35
	v_add_f32_e32 v32, v12, v37
	v_add_f32_e32 v12, v35, v37
	v_fma_f32 v30, -0.5, v12, v8
	v_sub_f32_e32 v8, v36, v40
	v_mov_b32_e32 v34, v30
	v_fmac_f32_e32 v34, 0xbf5db3d7, v8
	v_fmac_f32_e32 v30, 0x3f5db3d7, v8
	v_add_f32_e32 v8, v9, v36
	v_add_f32_e32 v33, v8, v40
	v_add_f32_e32 v8, v36, v40
	v_fma_f32 v31, -0.5, v8, v9
	;; [unrolled: 8-line block ×3, first 2 shown]
	v_sub_f32_e32 v8, v64, v66
	v_mov_b32_e32 v40, v10
	v_fmac_f32_e32 v40, 0xbf5db3d7, v8
	v_fmac_f32_e32 v10, 0x3f5db3d7, v8
	v_add_f32_e32 v8, v11, v64
	v_add_f32_e32 v37, v8, v66
	v_add_f32_e32 v8, v64, v66
	v_fmac_f32_e32 v11, -0.5, v8
	v_sub_f32_e32 v8, v41, v65
	v_mov_b32_e32 v41, v11
	v_fmac_f32_e32 v41, 0x3f5db3d7, v8
	v_fmac_f32_e32 v11, 0xbf5db3d7, v8
	s_waitcnt vmcnt(0)
	ds_write_b64 v18, v[44:45]
	ds_write_b64 v18, v[46:47] offset:2400
	ds_write_b64 v18, v[14:15] offset:4800
	ds_write2_b64 v95, v[32:33], v[36:37] offset0:64 offset1:154
	ds_write2_b64 v209, v[34:35], v[40:41] offset0:108 offset1:198
	;; [unrolled: 1-line block ×3, first 2 shown]
	buffer_load_dword v10, off, s[24:27], 0 offset:404 ; 4-byte Folded Reload
	v_add_f32_e32 v8, v4, v67
	v_add_f32_e32 v28, v8, v69
	;; [unrolled: 1-line block ×3, first 2 shown]
	v_fma_f32 v20, -0.5, v8, v4
	v_sub_f32_e32 v4, v68, v70
	v_mov_b32_e32 v22, v20
	v_fmac_f32_e32 v22, 0xbf5db3d7, v4
	v_fmac_f32_e32 v20, 0x3f5db3d7, v4
	v_add_f32_e32 v4, v5, v68
	v_add_f32_e32 v29, v4, v70
	;; [unrolled: 1-line block ×3, first 2 shown]
	v_fma_f32 v21, -0.5, v4, v5
	v_sub_f32_e32 v4, v67, v69
	v_mov_b32_e32 v23, v21
	v_fmac_f32_e32 v23, 0x3f5db3d7, v4
	v_fmac_f32_e32 v21, 0xbf5db3d7, v4
	s_waitcnt vmcnt(0)
	ds_write_b64 v10, v[28:29]
	ds_write_b64 v10, v[22:23] offset:2400
	ds_write_b64 v10, v[20:21] offset:4800
	buffer_load_dword v10, off, s[24:27], 0 offset:408 ; 4-byte Folded Reload
	v_add_f32_e32 v4, v6, v71
	v_add_f32_e32 v24, v4, v73
	v_add_f32_e32 v4, v71, v73
	v_fma_f32 v6, -0.5, v4, v6
	v_sub_f32_e32 v4, v72, v74
	v_mov_b32_e32 v26, v6
	v_fmac_f32_e32 v26, 0xbf5db3d7, v4
	v_fmac_f32_e32 v6, 0x3f5db3d7, v4
	v_add_f32_e32 v4, v7, v72
	v_add_f32_e32 v25, v4, v74
	;; [unrolled: 1-line block ×3, first 2 shown]
	v_fmac_f32_e32 v7, -0.5, v4
	v_sub_f32_e32 v4, v71, v73
	v_mov_b32_e32 v27, v7
	v_fmac_f32_e32 v27, 0x3f5db3d7, v4
	v_fmac_f32_e32 v7, 0xbf5db3d7, v4
	s_waitcnt vmcnt(0)
	ds_write_b64 v10, v[24:25] offset:14400
	ds_write_b64 v10, v[26:27] offset:16800
	;; [unrolled: 1-line block ×3, first 2 shown]
	buffer_load_dword v6, off, s[24:27], 0 offset:412 ; 4-byte Folded Reload
	v_add_f32_e32 v4, v0, v75
	v_add_f32_e32 v12, v4, v78
	;; [unrolled: 1-line block ×3, first 2 shown]
	v_fma_f32 v0, -0.5, v4, v0
	v_sub_f32_e32 v4, v77, v60
	v_mov_b32_e32 v16, v0
	v_fmac_f32_e32 v16, 0xbf5db3d7, v4
	v_fmac_f32_e32 v0, 0x3f5db3d7, v4
	v_add_f32_e32 v4, v1, v77
	v_add_f32_e32 v13, v4, v60
	v_add_f32_e32 v4, v77, v60
	v_fma_f32 v1, -0.5, v4, v1
	v_sub_f32_e32 v4, v75, v78
	v_mov_b32_e32 v17, v1
	v_fmac_f32_e32 v17, 0x3f5db3d7, v4
	v_fmac_f32_e32 v1, 0xbf5db3d7, v4
	s_waitcnt vmcnt(0)
	ds_write_b64 v6, v[12:13] offset:14400
	ds_write_b64 v6, v[16:17] offset:16800
	;; [unrolled: 1-line block ×3, first 2 shown]
	buffer_load_dword v0, off, s[24:27], 0 offset:416 ; 4-byte Folded Reload
	v_add_f32_e32 v5, v61, v80
	v_add_f32_e32 v4, v2, v61
	v_fma_f32 v2, -0.5, v5, v2
	v_sub_f32_e32 v5, v79, v62
	v_mov_b32_e32 v8, v2
	v_add_f32_e32 v9, v79, v62
	v_fmac_f32_e32 v8, 0xbf5db3d7, v5
	v_fmac_f32_e32 v2, 0x3f5db3d7, v5
	v_add_f32_e32 v5, v3, v79
	v_fmac_f32_e32 v3, -0.5, v9
	v_sub_f32_e32 v60, v61, v80
	v_mov_b32_e32 v9, v3
	v_add_f32_e32 v4, v4, v80
	v_add_f32_e32 v5, v5, v62
	v_fmac_f32_e32 v9, 0x3f5db3d7, v60
	v_fmac_f32_e32 v3, 0xbf5db3d7, v60
	s_waitcnt vmcnt(0)
	ds_write_b64 v0, v[4:5] offset:14400
	ds_write_b64 v0, v[8:9] offset:16800
	;; [unrolled: 1-line block ×3, first 2 shown]
	s_waitcnt lgkmcnt(0)
	s_barrier
	ds_read2_b64 v[16:19], v84 offset1:90
	ds_read2_b64 v[20:23], v238 offset0:132 offset1:222
	ds_read2_b64 v[24:27], v210 offset0:8 offset1:98
	;; [unrolled: 1-line block ×14, first 2 shown]
	s_waitcnt lgkmcnt(13)
	v_mul_f32_e32 v60, v137, v21
	v_fmac_f32_e32 v60, v136, v20
	v_mul_f32_e32 v20, v137, v20
	v_fma_f32 v20, v136, v21, -v20
	s_waitcnt lgkmcnt(12)
	v_mul_f32_e32 v21, v139, v25
	v_fmac_f32_e32 v21, v138, v24
	v_mul_f32_e32 v24, v139, v24
	v_fma_f32 v24, v138, v25, -v24
	v_mul_f32_e32 v25, v141, v23
	v_fmac_f32_e32 v25, v140, v22
	v_mul_f32_e32 v22, v141, v22
	v_fma_f32 v22, v140, v23, -v22
	;; [unrolled: 4-line block ×3, first 2 shown]
	s_waitcnt lgkmcnt(10)
	v_mul_f32_e32 v27, v145, v29
	v_fmac_f32_e32 v27, v144, v28
	v_mul_f32_e32 v28, v145, v28
	v_fma_f32 v28, v144, v29, -v28
	s_waitcnt lgkmcnt(9)
	v_mul_f32_e32 v29, v147, v33
	v_fmac_f32_e32 v29, v146, v32
	v_mul_f32_e32 v32, v147, v32
	v_fma_f32 v32, v146, v33, -v32
	v_mul_f32_e32 v33, v149, v31
	v_fmac_f32_e32 v33, v148, v30
	v_mul_f32_e32 v30, v149, v30
	v_fma_f32 v30, v148, v31, -v30
	;; [unrolled: 4-line block ×3, first 2 shown]
	s_waitcnt lgkmcnt(7)
	v_mul_f32_e32 v35, v153, v37
	v_fmac_f32_e32 v35, v152, v36
	v_mul_f32_e32 v36, v153, v36
	v_fma_f32 v37, v152, v37, -v36
	s_waitcnt lgkmcnt(6)
	v_mul_f32_e32 v36, v155, v40
	v_fma_f32 v62, v154, v41, -v36
	v_mul_f32_e32 v36, v157, v38
	v_fma_f32 v64, v156, v39, -v36
	;; [unrolled: 2-line block ×3, first 2 shown]
	s_waitcnt lgkmcnt(4)
	v_mul_f32_e32 v36, v161, v44
	v_fma_f32 v68, v160, v45, -v36
	s_waitcnt lgkmcnt(3)
	v_mul_f32_e32 v36, v163, v48
	v_fma_f32 v70, v162, v49, -v36
	v_mul_f32_e32 v36, v165, v46
	v_fma_f32 v72, v164, v47, -v36
	;; [unrolled: 2-line block ×3, first 2 shown]
	s_waitcnt lgkmcnt(1)
	v_mul_f32_e32 v36, v169, v52
	v_fma_f32 v76, v168, v53, -v36
	s_waitcnt lgkmcnt(0)
	v_mul_f32_e32 v36, v171, v56
	v_fma_f32 v78, v170, v57, -v36
	v_mul_f32_e32 v36, v173, v54
	v_fma_f32 v80, v172, v55, -v36
	v_mul_f32_e32 v36, v175, v58
	v_mul_f32_e32 v61, v155, v41
	v_fma_f32 v82, v174, v59, -v36
	v_add_f32_e32 v36, v16, v60
	v_fmac_f32_e32 v61, v154, v40
	v_mul_f32_e32 v67, v161, v45
	v_add_f32_e32 v40, v36, v21
	v_add_f32_e32 v36, v60, v21
	v_fmac_f32_e32 v67, v160, v44
	v_mul_f32_e32 v71, v165, v47
	v_fma_f32 v44, -0.5, v36, v16
	v_fmac_f32_e32 v71, v164, v46
	v_sub_f32_e32 v16, v20, v24
	v_mov_b32_e32 v46, v44
	v_fmac_f32_e32 v46, 0xbf5db3d7, v16
	v_fmac_f32_e32 v44, 0x3f5db3d7, v16
	v_add_f32_e32 v16, v17, v20
	v_add_f32_e32 v41, v16, v24
	v_add_f32_e32 v16, v20, v24
	v_fma_f32 v45, -0.5, v16, v17
	v_sub_f32_e32 v16, v60, v21
	v_mov_b32_e32 v47, v45
	v_mul_f32_e32 v69, v163, v49
	v_fmac_f32_e32 v47, 0x3f5db3d7, v16
	v_fmac_f32_e32 v45, 0xbf5db3d7, v16
	v_add_f32_e32 v16, v18, v25
	v_fmac_f32_e32 v69, v162, v48
	v_add_f32_e32 v48, v16, v23
	v_add_f32_e32 v16, v25, v23
	v_mul_f32_e32 v73, v167, v51
	v_fma_f32 v18, -0.5, v16, v18
	v_fmac_f32_e32 v73, v166, v50
	v_sub_f32_e32 v16, v22, v26
	v_mov_b32_e32 v50, v18
	v_fmac_f32_e32 v50, 0xbf5db3d7, v16
	v_fmac_f32_e32 v18, 0x3f5db3d7, v16
	v_add_f32_e32 v16, v19, v22
	v_add_f32_e32 v49, v16, v26
	;; [unrolled: 1-line block ×3, first 2 shown]
	v_fmac_f32_e32 v19, -0.5, v16
	v_sub_f32_e32 v16, v25, v23
	v_mov_b32_e32 v51, v19
	v_mul_f32_e32 v63, v157, v39
	v_fmac_f32_e32 v51, 0x3f5db3d7, v16
	v_fmac_f32_e32 v19, 0xbf5db3d7, v16
	v_add_f32_e32 v16, v12, v27
	v_fmac_f32_e32 v63, v156, v38
	v_mul_f32_e32 v65, v159, v43
	v_add_f32_e32 v38, v16, v29
	v_add_f32_e32 v16, v27, v29
	v_fmac_f32_e32 v65, v158, v42
	v_mul_f32_e32 v75, v169, v53
	v_fma_f32 v42, -0.5, v16, v12
	v_fmac_f32_e32 v75, v168, v52
	v_sub_f32_e32 v12, v28, v32
	v_mov_b32_e32 v52, v42
	v_fmac_f32_e32 v52, 0xbf5db3d7, v12
	v_fmac_f32_e32 v42, 0x3f5db3d7, v12
	v_add_f32_e32 v12, v13, v28
	v_add_f32_e32 v39, v12, v32
	;; [unrolled: 1-line block ×3, first 2 shown]
	v_fma_f32 v43, -0.5, v12, v13
	v_sub_f32_e32 v12, v27, v29
	v_mov_b32_e32 v53, v43
	v_mul_f32_e32 v79, v173, v55
	v_fmac_f32_e32 v53, 0x3f5db3d7, v12
	v_fmac_f32_e32 v43, 0xbf5db3d7, v12
	v_add_f32_e32 v12, v14, v33
	v_fmac_f32_e32 v79, v172, v54
	v_add_f32_e32 v54, v12, v31
	v_add_f32_e32 v12, v33, v31
	v_mul_f32_e32 v77, v171, v57
	v_fma_f32 v14, -0.5, v12, v14
	v_fmac_f32_e32 v77, v170, v56
	v_sub_f32_e32 v12, v30, v34
	v_mov_b32_e32 v56, v14
	v_fmac_f32_e32 v56, 0xbf5db3d7, v12
	v_fmac_f32_e32 v14, 0x3f5db3d7, v12
	v_add_f32_e32 v12, v15, v30
	v_add_f32_e32 v55, v12, v34
	;; [unrolled: 1-line block ×3, first 2 shown]
	v_fmac_f32_e32 v15, -0.5, v12
	v_sub_f32_e32 v12, v33, v31
	v_mov_b32_e32 v57, v15
	v_fmac_f32_e32 v57, 0x3f5db3d7, v12
	v_fmac_f32_e32 v15, 0xbf5db3d7, v12
	v_add_f32_e32 v12, v8, v35
	v_add_f32_e32 v22, v12, v61
	;; [unrolled: 1-line block ×3, first 2 shown]
	v_mul_f32_e32 v81, v175, v59
	v_fma_f32 v36, -0.5, v12, v8
	v_fmac_f32_e32 v81, v174, v58
	v_sub_f32_e32 v8, v37, v62
	v_mov_b32_e32 v58, v36
	v_fmac_f32_e32 v58, 0xbf5db3d7, v8
	v_fmac_f32_e32 v36, 0x3f5db3d7, v8
	v_add_f32_e32 v8, v9, v37
	v_add_f32_e32 v23, v8, v62
	;; [unrolled: 1-line block ×3, first 2 shown]
	v_fma_f32 v37, -0.5, v8, v9
	v_sub_f32_e32 v8, v35, v61
	v_mov_b32_e32 v59, v37
	v_fmac_f32_e32 v59, 0x3f5db3d7, v8
	v_fmac_f32_e32 v37, 0xbf5db3d7, v8
	v_add_f32_e32 v8, v10, v63
	v_add_f32_e32 v30, v8, v65
	;; [unrolled: 1-line block ×3, first 2 shown]
	v_fma_f32 v10, -0.5, v8, v10
	v_sub_f32_e32 v9, v64, v66
	v_mov_b32_e32 v8, v10
	v_fmac_f32_e32 v8, 0xbf5db3d7, v9
	v_fmac_f32_e32 v10, 0x3f5db3d7, v9
	v_add_f32_e32 v9, v11, v64
	v_add_f32_e32 v31, v9, v66
	;; [unrolled: 1-line block ×3, first 2 shown]
	v_fmac_f32_e32 v11, -0.5, v9
	v_sub_f32_e32 v12, v63, v65
	v_mov_b32_e32 v9, v11
	v_add_f32_e32 v13, v67, v69
	v_fmac_f32_e32 v9, 0x3f5db3d7, v12
	v_fmac_f32_e32 v11, 0xbf5db3d7, v12
	v_add_f32_e32 v12, v4, v67
	v_fma_f32 v4, -0.5, v13, v4
	v_sub_f32_e32 v13, v68, v70
	v_mov_b32_e32 v16, v4
	v_add_f32_e32 v17, v68, v70
	v_fmac_f32_e32 v16, 0xbf5db3d7, v13
	v_fmac_f32_e32 v4, 0x3f5db3d7, v13
	v_add_f32_e32 v13, v5, v68
	v_fma_f32 v5, -0.5, v17, v5
	v_sub_f32_e32 v20, v67, v69
	v_mov_b32_e32 v17, v5
	v_fmac_f32_e32 v17, 0x3f5db3d7, v20
	v_fmac_f32_e32 v5, 0xbf5db3d7, v20
	v_add_f32_e32 v20, v6, v71
	v_add_f32_e32 v24, v20, v73
	;; [unrolled: 1-line block ×3, first 2 shown]
	v_fma_f32 v6, -0.5, v20, v6
	v_sub_f32_e32 v21, v72, v74
	v_mov_b32_e32 v20, v6
	v_fmac_f32_e32 v20, 0xbf5db3d7, v21
	v_fmac_f32_e32 v6, 0x3f5db3d7, v21
	v_add_f32_e32 v21, v7, v72
	v_add_f32_e32 v25, v21, v74
	;; [unrolled: 1-line block ×3, first 2 shown]
	v_fmac_f32_e32 v7, -0.5, v21
	v_sub_f32_e32 v26, v71, v73
	v_mov_b32_e32 v21, v7
	v_add_f32_e32 v27, v75, v77
	v_fmac_f32_e32 v21, 0x3f5db3d7, v26
	v_fmac_f32_e32 v7, 0xbf5db3d7, v26
	v_add_f32_e32 v26, v0, v75
	v_fma_f32 v0, -0.5, v27, v0
	v_sub_f32_e32 v27, v76, v78
	v_mov_b32_e32 v28, v0
	v_add_f32_e32 v29, v76, v78
	v_fmac_f32_e32 v28, 0xbf5db3d7, v27
	v_fmac_f32_e32 v0, 0x3f5db3d7, v27
	v_add_f32_e32 v27, v1, v76
	v_fma_f32 v1, -0.5, v29, v1
	;; [unrolled: 7-line block ×3, first 2 shown]
	v_sub_f32_e32 v33, v80, v82
	v_mov_b32_e32 v34, v2
	v_add_f32_e32 v35, v80, v82
	v_fmac_f32_e32 v34, 0xbf5db3d7, v33
	v_fmac_f32_e32 v2, 0x3f5db3d7, v33
	v_add_f32_e32 v33, v3, v80
	v_fmac_f32_e32 v3, -0.5, v35
	v_sub_f32_e32 v60, v79, v81
	ds_write_b64 v84, v[46:47] offset:7200
	ds_write_b64 v84, v[44:45] offset:14400
	ds_write2_b64 v84, v[40:41], v[48:49] offset1:90
	ds_write2_b64 v95, v[50:51], v[52:53] offset0:94 offset1:184
	ds_write2_b64 v210, v[18:19], v[42:43] offset0:98 offset1:188
	;; [unrolled: 1-line block ×7, first 2 shown]
	v_add_u32_e32 v8, 0x4400, v84
	v_add_f32_e32 v12, v12, v69
	v_add_f32_e32 v13, v13, v70
	v_mov_b32_e32 v35, v3
	v_fmac_f32_e32 v3, 0xbf5db3d7, v60
	ds_write2_b64 v8, v[10:11], v[4:5] offset0:74 offset1:164
	ds_write2_b64 v208, v[12:13], v[24:25] offset0:28 offset1:118
	v_add_u32_e32 v4, 0x2c00, v84
	v_add_f32_e32 v26, v26, v77
	v_add_f32_e32 v27, v27, v78
	;; [unrolled: 1-line block ×4, first 2 shown]
	v_fmac_f32_e32 v35, 0x3f5db3d7, v60
	ds_write2_b64 v4, v[20:21], v[28:29] offset0:122 offset1:212
	ds_write2_b64 v112, v[6:7], v[0:1] offset0:126 offset1:216
	;; [unrolled: 1-line block ×3, first 2 shown]
	ds_write_b64 v84, v[34:35] offset:13680
	ds_write_b64 v84, v[2:3] offset:20880
	s_waitcnt lgkmcnt(0)
	s_barrier
	ds_read2_b64 v[0:3], v84 offset1:90
	buffer_load_dword v5, off, s[24:27], 0 offset:232 ; 4-byte Folded Reload
	buffer_load_dword v6, off, s[24:27], 0 offset:236 ; 4-byte Folded Reload
	v_mov_b32_e32 v8, s13
	s_waitcnt vmcnt(0) lgkmcnt(0)
	v_mul_f32_e32 v4, v6, v1
	v_mov_b32_e32 v7, v6
	v_fmac_f32_e32 v4, v5, v0
	v_mov_b32_e32 v6, v5
	v_mul_f32_e32 v0, v7, v0
	v_fma_f32 v0, v6, v1, -v0
	buffer_load_dword v6, off, s[24:27], 0 offset:308 ; 4-byte Folded Reload
	v_cvt_f64_f32_e32 v[4:5], v4
	v_cvt_f64_f32_e32 v[0:1], v0
	v_mul_f64 v[4:5], v[4:5], s[2:3]
	v_mul_f64 v[0:1], v[0:1], s[2:3]
	v_cvt_f32_f64_e32 v4, v[4:5]
	v_cvt_f32_f64_e32 v5, v[0:1]
	s_waitcnt vmcnt(0)
	v_mad_u64_u32 v[0:1], s[4:5], s0, v6, 0
	v_mad_u64_u32 v[6:7], s[4:5], s1, v6, v[1:2]
	s_mul_i32 s4, s1, 0x1c20
	s_mul_hi_u32 s5, s0, 0x1c20
	v_mov_b32_e32 v1, v6
	buffer_load_dword v6, off, s[24:27], 0 offset:200 ; 4-byte Folded Reload
	buffer_load_dword v7, off, s[24:27], 0 offset:204 ; 4-byte Folded Reload
	v_lshlrev_b64 v[0:1], 3, v[0:1]
	s_add_i32 s4, s5, s4
	s_mul_i32 s5, s0, 0x1c20
	s_mulk_i32 s1, 0xca90
	s_add_i32 s1, s6, s1
	s_mulk_i32 s0, 0xca90
	s_waitcnt vmcnt(0)
	v_lshlrev_b64 v[6:7], 3, v[6:7]
	v_add_co_u32_e32 v6, vcc, s12, v6
	v_addc_co_u32_e32 v7, vcc, v8, v7, vcc
	v_add_co_u32_e32 v0, vcc, v6, v0
	v_addc_co_u32_e32 v1, vcc, v7, v1, vcc
	global_store_dwordx2 v[0:1], v[4:5], off
	ds_read2_b64 v[4:7], v238 offset0:132 offset1:222
	buffer_load_dword v9, off, s[24:27], 0 offset:224 ; 4-byte Folded Reload
	buffer_load_dword v10, off, s[24:27], 0 offset:228 ; 4-byte Folded Reload
	v_add_co_u32_e32 v0, vcc, s5, v0
	s_waitcnt vmcnt(0) lgkmcnt(0)
	v_mul_f32_e32 v8, v10, v5
	v_mov_b32_e32 v11, v10
	v_fmac_f32_e32 v8, v9, v4
	v_mov_b32_e32 v10, v9
	v_mul_f32_e32 v4, v11, v4
	v_fma_f32 v4, v10, v5, -v4
	v_cvt_f64_f32_e32 v[8:9], v8
	v_cvt_f64_f32_e32 v[4:5], v4
	v_mul_f64 v[8:9], v[8:9], s[2:3]
	v_mul_f64 v[4:5], v[4:5], s[2:3]
	v_cvt_f32_f64_e32 v8, v[8:9]
	v_cvt_f32_f64_e32 v9, v[4:5]
	v_mov_b32_e32 v4, s4
	v_addc_co_u32_e32 v1, vcc, v1, v4, vcc
	global_store_dwordx2 v[0:1], v[8:9], off
	ds_read2_b64 v[8:11], v210 offset0:8 offset1:98
	buffer_load_dword v12, off, s[24:27], 0 offset:208 ; 4-byte Folded Reload
	buffer_load_dword v13, off, s[24:27], 0 offset:212 ; 4-byte Folded Reload
	v_add_co_u32_e32 v0, vcc, s5, v0
	s_waitcnt vmcnt(0) lgkmcnt(0)
	v_mul_f32_e32 v4, v13, v9
	v_fmac_f32_e32 v4, v12, v8
	v_cvt_f64_f32_e32 v[4:5], v4
	v_mul_f64 v[4:5], v[4:5], s[2:3]
	v_cvt_f32_f64_e32 v4, v[4:5]
	v_mul_f32_e32 v5, v13, v8
	v_fma_f32 v5, v12, v9, -v5
	v_cvt_f64_f32_e32 v[8:9], v5
	v_mul_f64 v[8:9], v[8:9], s[2:3]
	v_cvt_f32_f64_e32 v5, v[8:9]
	v_mov_b32_e32 v8, s4
	v_addc_co_u32_e32 v1, vcc, v1, v8, vcc
	global_store_dwordx2 v[0:1], v[4:5], off
	buffer_load_dword v8, off, s[24:27], 0 offset:216 ; 4-byte Folded Reload
	buffer_load_dword v9, off, s[24:27], 0 offset:220 ; 4-byte Folded Reload
	v_add_co_u32_e32 v0, vcc, s0, v0
	s_waitcnt vmcnt(0)
	v_mul_f32_e32 v4, v9, v3
	v_fmac_f32_e32 v4, v8, v2
	v_mul_f32_e32 v2, v9, v2
	v_fma_f32 v2, v8, v3, -v2
	v_cvt_f64_f32_e32 v[4:5], v4
	v_cvt_f64_f32_e32 v[2:3], v2
	v_mul_f64 v[4:5], v[4:5], s[2:3]
	v_mul_f64 v[2:3], v[2:3], s[2:3]
	v_cvt_f32_f64_e32 v4, v[4:5]
	v_cvt_f32_f64_e32 v5, v[2:3]
	v_mov_b32_e32 v2, s1
	v_addc_co_u32_e32 v1, vcc, v1, v2, vcc
	global_store_dwordx2 v[0:1], v[4:5], off
	buffer_load_dword v3, off, s[24:27], 0 offset:192 ; 4-byte Folded Reload
	s_nop 0
	buffer_load_dword v4, off, s[24:27], 0 offset:196 ; 4-byte Folded Reload
	v_add_co_u32_e32 v0, vcc, s5, v0
	s_waitcnt vmcnt(0)
	v_mul_f32_e32 v2, v4, v7
	v_fmac_f32_e32 v2, v3, v6
	v_mov_b32_e32 v5, v4
	v_mov_b32_e32 v4, v3
	v_cvt_f64_f32_e32 v[2:3], v2
	v_mul_f64 v[2:3], v[2:3], s[2:3]
	v_cvt_f32_f64_e32 v2, v[2:3]
	v_mul_f32_e32 v3, v5, v6
	v_fma_f32 v3, v4, v7, -v3
	v_cvt_f64_f32_e32 v[3:4], v3
	v_mul_f64 v[3:4], v[3:4], s[2:3]
	v_cvt_f32_f64_e32 v3, v[3:4]
	v_mov_b32_e32 v4, s4
	v_addc_co_u32_e32 v1, vcc, v1, v4, vcc
	global_store_dwordx2 v[0:1], v[2:3], off
	buffer_load_dword v3, off, s[24:27], 0 offset:168 ; 4-byte Folded Reload
	s_nop 0
	buffer_load_dword v4, off, s[24:27], 0 offset:172 ; 4-byte Folded Reload
	s_waitcnt vmcnt(0)
	v_mul_f32_e32 v2, v4, v11
	v_fmac_f32_e32 v2, v3, v10
	v_mov_b32_e32 v5, v4
	v_mov_b32_e32 v4, v3
	v_cvt_f64_f32_e32 v[2:3], v2
	v_mul_f64 v[2:3], v[2:3], s[2:3]
	v_cvt_f32_f64_e32 v2, v[2:3]
	v_mul_f32_e32 v3, v5, v10
	v_fma_f32 v3, v4, v11, -v3
	v_cvt_f64_f32_e32 v[3:4], v3
	v_mul_f64 v[3:4], v[3:4], s[2:3]
	v_cvt_f32_f64_e32 v3, v[3:4]
	v_add_co_u32_e32 v4, vcc, s5, v0
	v_mov_b32_e32 v0, s4
	v_addc_co_u32_e32 v5, vcc, v1, v0, vcc
	global_store_dwordx2 v[4:5], v[2:3], off
	ds_read2_b64 v[0:3], v213 offset0:52 offset1:142
	buffer_load_dword v7, off, s[24:27], 0 offset:184 ; 4-byte Folded Reload
	buffer_load_dword v8, off, s[24:27], 0 offset:188 ; 4-byte Folded Reload
	s_waitcnt vmcnt(0) lgkmcnt(0)
	v_mul_f32_e32 v6, v8, v1
	v_mov_b32_e32 v9, v8
	v_fmac_f32_e32 v6, v7, v0
	v_mov_b32_e32 v8, v7
	v_mul_f32_e32 v0, v9, v0
	v_fma_f32 v0, v8, v1, -v0
	v_cvt_f64_f32_e32 v[6:7], v6
	v_cvt_f64_f32_e32 v[0:1], v0
	v_mul_f64 v[6:7], v[6:7], s[2:3]
	v_mul_f64 v[0:1], v[0:1], s[2:3]
	v_cvt_f32_f64_e32 v6, v[6:7]
	v_cvt_f32_f64_e32 v7, v[0:1]
	v_add_co_u32_e32 v0, vcc, s0, v4
	v_mov_b32_e32 v1, s1
	v_addc_co_u32_e32 v1, vcc, v5, v1, vcc
	global_store_dwordx2 v[0:1], v[6:7], off
	ds_read2_b64 v[4:7], v239 offset0:56 offset1:146
	buffer_load_dword v9, off, s[24:27], 0 offset:144 ; 4-byte Folded Reload
	buffer_load_dword v10, off, s[24:27], 0 offset:148 ; 4-byte Folded Reload
	v_add_co_u32_e32 v0, vcc, s5, v0
	s_waitcnt vmcnt(0) lgkmcnt(0)
	v_mul_f32_e32 v8, v10, v5
	v_mov_b32_e32 v11, v10
	v_fmac_f32_e32 v8, v9, v4
	v_mov_b32_e32 v10, v9
	v_mul_f32_e32 v4, v11, v4
	v_fma_f32 v4, v10, v5, -v4
	v_cvt_f64_f32_e32 v[8:9], v8
	v_cvt_f64_f32_e32 v[4:5], v4
	v_mul_f64 v[8:9], v[8:9], s[2:3]
	v_mul_f64 v[4:5], v[4:5], s[2:3]
	v_cvt_f32_f64_e32 v8, v[8:9]
	v_cvt_f32_f64_e32 v9, v[4:5]
	v_mov_b32_e32 v4, s4
	v_addc_co_u32_e32 v1, vcc, v1, v4, vcc
	global_store_dwordx2 v[0:1], v[8:9], off
	ds_read2_b64 v[8:11], v212 offset0:60 offset1:150
	buffer_load_dword v12, off, s[24:27], 0 offset:112 ; 4-byte Folded Reload
	buffer_load_dword v13, off, s[24:27], 0 offset:116 ; 4-byte Folded Reload
	v_add_co_u32_e32 v0, vcc, s5, v0
	s_waitcnt vmcnt(0) lgkmcnt(0)
	v_mul_f32_e32 v4, v13, v9
	v_fmac_f32_e32 v4, v12, v8
	v_cvt_f64_f32_e32 v[4:5], v4
	v_mul_f64 v[4:5], v[4:5], s[2:3]
	v_cvt_f32_f64_e32 v4, v[4:5]
	v_mul_f32_e32 v5, v13, v8
	v_fma_f32 v5, v12, v9, -v5
	v_cvt_f64_f32_e32 v[8:9], v5
	v_mul_f64 v[8:9], v[8:9], s[2:3]
	v_cvt_f32_f64_e32 v5, v[8:9]
	v_mov_b32_e32 v8, s4
	v_addc_co_u32_e32 v1, vcc, v1, v8, vcc
	global_store_dwordx2 v[0:1], v[4:5], off
	buffer_load_dword v8, off, s[24:27], 0 offset:152 ; 4-byte Folded Reload
	buffer_load_dword v9, off, s[24:27], 0 offset:156 ; 4-byte Folded Reload
	v_add_co_u32_e32 v0, vcc, s0, v0
	s_waitcnt vmcnt(0)
	v_mul_f32_e32 v4, v9, v3
	v_fmac_f32_e32 v4, v8, v2
	v_mul_f32_e32 v2, v9, v2
	v_fma_f32 v2, v8, v3, -v2
	v_cvt_f64_f32_e32 v[4:5], v4
	v_cvt_f64_f32_e32 v[2:3], v2
	v_mul_f64 v[4:5], v[4:5], s[2:3]
	v_mul_f64 v[2:3], v[2:3], s[2:3]
	v_cvt_f32_f64_e32 v4, v[4:5]
	v_cvt_f32_f64_e32 v5, v[2:3]
	v_mov_b32_e32 v2, s1
	v_addc_co_u32_e32 v1, vcc, v1, v2, vcc
	global_store_dwordx2 v[0:1], v[4:5], off
	buffer_load_dword v3, off, s[24:27], 0 offset:176 ; 4-byte Folded Reload
	s_nop 0
	buffer_load_dword v4, off, s[24:27], 0 offset:180 ; 4-byte Folded Reload
	v_add_co_u32_e32 v0, vcc, s5, v0
	s_waitcnt vmcnt(0)
	v_mul_f32_e32 v2, v4, v7
	v_fmac_f32_e32 v2, v3, v6
	v_mov_b32_e32 v5, v4
	v_mov_b32_e32 v4, v3
	v_cvt_f64_f32_e32 v[2:3], v2
	v_mul_f64 v[2:3], v[2:3], s[2:3]
	v_cvt_f32_f64_e32 v2, v[2:3]
	v_mul_f32_e32 v3, v5, v6
	v_fma_f32 v3, v4, v7, -v3
	v_cvt_f64_f32_e32 v[3:4], v3
	v_mul_f64 v[3:4], v[3:4], s[2:3]
	v_cvt_f32_f64_e32 v3, v[3:4]
	v_mov_b32_e32 v4, s4
	v_addc_co_u32_e32 v1, vcc, v1, v4, vcc
	global_store_dwordx2 v[0:1], v[2:3], off
	buffer_load_dword v3, off, s[24:27], 0 offset:160 ; 4-byte Folded Reload
	s_nop 0
	buffer_load_dword v4, off, s[24:27], 0 offset:164 ; 4-byte Folded Reload
	s_waitcnt vmcnt(0)
	v_mul_f32_e32 v2, v4, v11
	v_fmac_f32_e32 v2, v3, v10
	v_mov_b32_e32 v5, v4
	v_mov_b32_e32 v4, v3
	v_cvt_f64_f32_e32 v[2:3], v2
	v_mul_f64 v[2:3], v[2:3], s[2:3]
	v_cvt_f32_f64_e32 v2, v[2:3]
	v_mul_f32_e32 v3, v5, v10
	v_fma_f32 v3, v4, v11, -v3
	v_cvt_f64_f32_e32 v[3:4], v3
	v_mul_f64 v[3:4], v[3:4], s[2:3]
	v_cvt_f32_f64_e32 v3, v[3:4]
	v_add_co_u32_e32 v4, vcc, s5, v0
	v_mov_b32_e32 v0, s4
	v_addc_co_u32_e32 v5, vcc, v1, v0, vcc
	global_store_dwordx2 v[4:5], v[2:3], off
	ds_read2_b64 v[0:3], v114 offset0:104 offset1:194
	buffer_load_dword v7, off, s[24:27], 0 offset:136 ; 4-byte Folded Reload
	buffer_load_dword v8, off, s[24:27], 0 offset:140 ; 4-byte Folded Reload
	s_waitcnt vmcnt(0) lgkmcnt(0)
	v_mul_f32_e32 v6, v8, v1
	v_mov_b32_e32 v9, v8
	v_fmac_f32_e32 v6, v7, v0
	v_mov_b32_e32 v8, v7
	v_mul_f32_e32 v0, v9, v0
	v_fma_f32 v0, v8, v1, -v0
	v_cvt_f64_f32_e32 v[6:7], v6
	v_cvt_f64_f32_e32 v[0:1], v0
	v_mul_f64 v[6:7], v[6:7], s[2:3]
	v_mul_f64 v[0:1], v[0:1], s[2:3]
	v_cvt_f32_f64_e32 v6, v[6:7]
	v_cvt_f32_f64_e32 v7, v[0:1]
	v_add_co_u32_e32 v0, vcc, s0, v4
	v_mov_b32_e32 v1, s1
	v_addc_co_u32_e32 v1, vcc, v5, v1, vcc
	global_store_dwordx2 v[0:1], v[6:7], off
	ds_read2_b64 v[4:7], v209 offset0:108 offset1:198
	buffer_load_dword v9, off, s[24:27], 0 offset:120 ; 4-byte Folded Reload
	buffer_load_dword v10, off, s[24:27], 0 offset:124 ; 4-byte Folded Reload
	v_add_co_u32_e32 v0, vcc, s5, v0
	s_waitcnt vmcnt(0) lgkmcnt(0)
	v_mul_f32_e32 v8, v10, v5
	v_mov_b32_e32 v11, v10
	v_fmac_f32_e32 v8, v9, v4
	v_mov_b32_e32 v10, v9
	v_mul_f32_e32 v4, v11, v4
	v_fma_f32 v4, v10, v5, -v4
	v_cvt_f64_f32_e32 v[8:9], v8
	v_cvt_f64_f32_e32 v[4:5], v4
	v_mul_f64 v[8:9], v[8:9], s[2:3]
	v_mul_f64 v[4:5], v[4:5], s[2:3]
	v_cvt_f32_f64_e32 v8, v[8:9]
	v_cvt_f32_f64_e32 v9, v[4:5]
	v_mov_b32_e32 v4, s4
	v_addc_co_u32_e32 v1, vcc, v1, v4, vcc
	global_store_dwordx2 v[0:1], v[8:9], off
	ds_read2_b64 v[8:11], v211 offset0:112 offset1:202
	buffer_load_dword v12, off, s[24:27], 0 offset:128 ; 4-byte Folded Reload
	buffer_load_dword v13, off, s[24:27], 0 offset:132 ; 4-byte Folded Reload
	v_add_co_u32_e32 v0, vcc, s5, v0
	s_waitcnt vmcnt(0) lgkmcnt(0)
	v_mul_f32_e32 v4, v13, v9
	v_fmac_f32_e32 v4, v12, v8
	v_cvt_f64_f32_e32 v[4:5], v4
	v_mul_f64 v[4:5], v[4:5], s[2:3]
	v_cvt_f32_f64_e32 v4, v[4:5]
	v_mul_f32_e32 v5, v13, v8
	v_fma_f32 v5, v12, v9, -v5
	v_cvt_f64_f32_e32 v[8:9], v5
	v_mul_f64 v[8:9], v[8:9], s[2:3]
	v_cvt_f32_f64_e32 v5, v[8:9]
	v_mov_b32_e32 v8, s4
	v_addc_co_u32_e32 v1, vcc, v1, v8, vcc
	global_store_dwordx2 v[0:1], v[4:5], off
	buffer_load_dword v8, off, s[24:27], 0 offset:104 ; 4-byte Folded Reload
	buffer_load_dword v9, off, s[24:27], 0 offset:108 ; 4-byte Folded Reload
	v_add_co_u32_e32 v0, vcc, s0, v0
	s_waitcnt vmcnt(0)
	v_mul_f32_e32 v4, v9, v3
	v_fmac_f32_e32 v4, v8, v2
	v_mul_f32_e32 v2, v9, v2
	v_fma_f32 v2, v8, v3, -v2
	v_cvt_f64_f32_e32 v[4:5], v4
	v_cvt_f64_f32_e32 v[2:3], v2
	v_mul_f64 v[4:5], v[4:5], s[2:3]
	v_mul_f64 v[2:3], v[2:3], s[2:3]
	v_cvt_f32_f64_e32 v4, v[4:5]
	v_cvt_f32_f64_e32 v5, v[2:3]
	v_mov_b32_e32 v2, s1
	v_addc_co_u32_e32 v1, vcc, v1, v2, vcc
	global_store_dwordx2 v[0:1], v[4:5], off
	buffer_load_dword v3, off, s[24:27], 0 offset:96 ; 4-byte Folded Reload
	s_nop 0
	buffer_load_dword v4, off, s[24:27], 0 offset:100 ; 4-byte Folded Reload
	v_add_co_u32_e32 v0, vcc, s5, v0
	s_waitcnt vmcnt(0)
	v_mul_f32_e32 v2, v4, v7
	v_fmac_f32_e32 v2, v3, v6
	v_mov_b32_e32 v5, v4
	v_mov_b32_e32 v4, v3
	v_cvt_f64_f32_e32 v[2:3], v2
	v_mul_f64 v[2:3], v[2:3], s[2:3]
	v_cvt_f32_f64_e32 v2, v[2:3]
	v_mul_f32_e32 v3, v5, v6
	v_fma_f32 v3, v4, v7, -v3
	v_cvt_f64_f32_e32 v[3:4], v3
	v_mul_f64 v[3:4], v[3:4], s[2:3]
	v_cvt_f32_f64_e32 v3, v[3:4]
	v_mov_b32_e32 v4, s4
	v_addc_co_u32_e32 v1, vcc, v1, v4, vcc
	global_store_dwordx2 v[0:1], v[2:3], off
	buffer_load_dword v3, off, s[24:27], 0 offset:88 ; 4-byte Folded Reload
	s_nop 0
	buffer_load_dword v4, off, s[24:27], 0 offset:92 ; 4-byte Folded Reload
	s_waitcnt vmcnt(0)
	v_mul_f32_e32 v2, v4, v11
	v_fmac_f32_e32 v2, v3, v10
	v_mov_b32_e32 v5, v4
	v_mov_b32_e32 v4, v3
	v_cvt_f64_f32_e32 v[2:3], v2
	v_mul_f64 v[2:3], v[2:3], s[2:3]
	v_cvt_f32_f64_e32 v2, v[2:3]
	v_mul_f32_e32 v3, v5, v10
	v_fma_f32 v3, v4, v11, -v3
	v_cvt_f64_f32_e32 v[3:4], v3
	v_mul_f64 v[3:4], v[3:4], s[2:3]
	v_cvt_f32_f64_e32 v3, v[3:4]
	v_add_co_u32_e32 v4, vcc, s5, v0
	v_mov_b32_e32 v0, s4
	v_addc_co_u32_e32 v5, vcc, v1, v0, vcc
	global_store_dwordx2 v[4:5], v[2:3], off
	ds_read2_b64 v[0:3], v208 offset0:28 offset1:118
	buffer_load_dword v7, off, s[24:27], 0 offset:72 ; 4-byte Folded Reload
	buffer_load_dword v8, off, s[24:27], 0 offset:76 ; 4-byte Folded Reload
	s_waitcnt vmcnt(0) lgkmcnt(0)
	v_mul_f32_e32 v6, v8, v1
	v_mov_b32_e32 v9, v8
	v_fmac_f32_e32 v6, v7, v0
	v_mov_b32_e32 v8, v7
	v_mul_f32_e32 v0, v9, v0
	v_fma_f32 v0, v8, v1, -v0
	v_cvt_f64_f32_e32 v[6:7], v6
	v_cvt_f64_f32_e32 v[0:1], v0
	v_mul_f64 v[6:7], v[6:7], s[2:3]
	v_mul_f64 v[0:1], v[0:1], s[2:3]
	v_cvt_f32_f64_e32 v6, v[6:7]
	v_cvt_f32_f64_e32 v7, v[0:1]
	v_add_co_u32_e32 v0, vcc, s0, v4
	v_mov_b32_e32 v1, s1
	v_addc_co_u32_e32 v1, vcc, v5, v1, vcc
	global_store_dwordx2 v[0:1], v[6:7], off
	ds_read2_b64 v[4:7], v113 offset0:160 offset1:250
	buffer_load_dword v9, off, s[24:27], 0 offset:56 ; 4-byte Folded Reload
	buffer_load_dword v10, off, s[24:27], 0 offset:60 ; 4-byte Folded Reload
	v_add_co_u32_e32 v0, vcc, s5, v0
	s_waitcnt vmcnt(0) lgkmcnt(0)
	v_mul_f32_e32 v8, v10, v5
	v_mov_b32_e32 v11, v10
	v_fmac_f32_e32 v8, v9, v4
	v_mov_b32_e32 v10, v9
	v_mul_f32_e32 v4, v11, v4
	v_fma_f32 v4, v10, v5, -v4
	v_cvt_f64_f32_e32 v[8:9], v8
	v_cvt_f64_f32_e32 v[4:5], v4
	v_mul_f64 v[8:9], v[8:9], s[2:3]
	v_mul_f64 v[4:5], v[4:5], s[2:3]
	v_cvt_f32_f64_e32 v8, v[8:9]
	v_cvt_f32_f64_e32 v9, v[4:5]
	v_mov_b32_e32 v4, s4
	v_addc_co_u32_e32 v1, vcc, v1, v4, vcc
	global_store_dwordx2 v[0:1], v[8:9], off
	ds_read2_b64 v[8:11], v112 offset0:36 offset1:126
	buffer_load_dword v12, off, s[24:27], 0 offset:32 ; 4-byte Folded Reload
	buffer_load_dword v13, off, s[24:27], 0 offset:36 ; 4-byte Folded Reload
	v_add_co_u32_e32 v0, vcc, s5, v0
	s_waitcnt vmcnt(0) lgkmcnt(0)
	v_mul_f32_e32 v4, v13, v9
	v_fmac_f32_e32 v4, v12, v8
	v_cvt_f64_f32_e32 v[4:5], v4
	v_mul_f64 v[4:5], v[4:5], s[2:3]
	v_cvt_f32_f64_e32 v4, v[4:5]
	v_mul_f32_e32 v5, v13, v8
	v_fma_f32 v5, v12, v9, -v5
	v_cvt_f64_f32_e32 v[8:9], v5
	v_mul_f64 v[8:9], v[8:9], s[2:3]
	v_cvt_f32_f64_e32 v5, v[8:9]
	v_mov_b32_e32 v8, s4
	v_addc_co_u32_e32 v1, vcc, v1, v8, vcc
	global_store_dwordx2 v[0:1], v[4:5], off
	buffer_load_dword v8, off, s[24:27], 0 offset:24 ; 4-byte Folded Reload
	buffer_load_dword v9, off, s[24:27], 0 offset:28 ; 4-byte Folded Reload
	v_add_co_u32_e32 v0, vcc, s0, v0
	s_waitcnt vmcnt(0)
	v_mul_f32_e32 v4, v9, v3
	v_fmac_f32_e32 v4, v8, v2
	v_mul_f32_e32 v2, v9, v2
	v_fma_f32 v2, v8, v3, -v2
	v_cvt_f64_f32_e32 v[4:5], v4
	v_cvt_f64_f32_e32 v[2:3], v2
	v_mul_f64 v[4:5], v[4:5], s[2:3]
	v_mul_f64 v[2:3], v[2:3], s[2:3]
	v_cvt_f32_f64_e32 v4, v[4:5]
	v_cvt_f32_f64_e32 v5, v[2:3]
	v_mov_b32_e32 v2, s1
	v_addc_co_u32_e32 v1, vcc, v1, v2, vcc
	global_store_dwordx2 v[0:1], v[4:5], off
	buffer_load_dword v3, off, s[24:27], 0 offset:16 ; 4-byte Folded Reload
	s_nop 0
	buffer_load_dword v4, off, s[24:27], 0 offset:20 ; 4-byte Folded Reload
	v_add_co_u32_e32 v0, vcc, s5, v0
	s_waitcnt vmcnt(0)
	v_mul_f32_e32 v2, v4, v7
	v_fmac_f32_e32 v2, v3, v6
	v_mov_b32_e32 v5, v4
	v_mov_b32_e32 v4, v3
	v_cvt_f64_f32_e32 v[2:3], v2
	v_mul_f64 v[2:3], v[2:3], s[2:3]
	v_cvt_f32_f64_e32 v2, v[2:3]
	v_mul_f32_e32 v3, v5, v6
	v_fma_f32 v3, v4, v7, -v3
	v_cvt_f64_f32_e32 v[3:4], v3
	v_mul_f64 v[3:4], v[3:4], s[2:3]
	v_cvt_f32_f64_e32 v3, v[3:4]
	v_mov_b32_e32 v4, s4
	v_addc_co_u32_e32 v1, vcc, v1, v4, vcc
	global_store_dwordx2 v[0:1], v[2:3], off
	buffer_load_dword v3, off, s[24:27], 0 offset:8 ; 4-byte Folded Reload
	s_nop 0
	buffer_load_dword v4, off, s[24:27], 0 offset:12 ; 4-byte Folded Reload
	s_waitcnt vmcnt(0)
	v_mul_f32_e32 v2, v4, v11
	v_fmac_f32_e32 v2, v3, v10
	v_mov_b32_e32 v5, v4
	v_mov_b32_e32 v4, v3
	v_cvt_f64_f32_e32 v[2:3], v2
	v_mul_f64 v[2:3], v[2:3], s[2:3]
	v_cvt_f32_f64_e32 v2, v[2:3]
	v_mul_f32_e32 v3, v5, v10
	v_fma_f32 v3, v4, v11, -v3
	v_cvt_f64_f32_e32 v[3:4], v3
	v_mul_f64 v[3:4], v[3:4], s[2:3]
	v_cvt_f32_f64_e32 v3, v[3:4]
	v_add_co_u32_e32 v4, vcc, s5, v0
	v_mov_b32_e32 v0, s4
	v_addc_co_u32_e32 v5, vcc, v1, v0, vcc
	global_store_dwordx2 v[4:5], v[2:3], off
	ds_read2_b64 v[0:3], v207 offset0:80 offset1:170
	buffer_load_dword v7, off, s[24:27], 0  ; 4-byte Folded Reload
	buffer_load_dword v8, off, s[24:27], 0 offset:4 ; 4-byte Folded Reload
	s_waitcnt vmcnt(0) lgkmcnt(0)
	v_mul_f32_e32 v6, v8, v1
	v_mov_b32_e32 v9, v8
	v_fmac_f32_e32 v6, v7, v0
	v_mov_b32_e32 v8, v7
	v_mul_f32_e32 v0, v9, v0
	v_fma_f32 v0, v8, v1, -v0
	v_cvt_f64_f32_e32 v[6:7], v6
	v_cvt_f64_f32_e32 v[0:1], v0
	v_mul_f64 v[6:7], v[6:7], s[2:3]
	v_mul_f64 v[0:1], v[0:1], s[2:3]
	v_cvt_f32_f64_e32 v6, v[6:7]
	v_cvt_f32_f64_e32 v7, v[0:1]
	v_add_co_u32_e32 v0, vcc, s0, v4
	v_mov_b32_e32 v1, s1
	v_addc_co_u32_e32 v1, vcc, v5, v1, vcc
	global_store_dwordx2 v[0:1], v[6:7], off
	ds_read2_b64 v[4:7], v111 offset0:84 offset1:174
	buffer_load_dword v9, off, s[24:27], 0 offset:80 ; 4-byte Folded Reload
	buffer_load_dword v10, off, s[24:27], 0 offset:84 ; 4-byte Folded Reload
	v_add_co_u32_e32 v0, vcc, s5, v0
	s_waitcnt vmcnt(0) lgkmcnt(0)
	v_mul_f32_e32 v8, v10, v5
	v_mov_b32_e32 v11, v10
	v_fmac_f32_e32 v8, v9, v4
	v_mov_b32_e32 v10, v9
	v_mul_f32_e32 v4, v11, v4
	v_fma_f32 v4, v10, v5, -v4
	v_cvt_f64_f32_e32 v[8:9], v8
	v_cvt_f64_f32_e32 v[4:5], v4
	v_mul_f64 v[8:9], v[8:9], s[2:3]
	v_mul_f64 v[4:5], v[4:5], s[2:3]
	v_cvt_f32_f64_e32 v8, v[8:9]
	v_cvt_f32_f64_e32 v9, v[4:5]
	v_mov_b32_e32 v4, s4
	v_addc_co_u32_e32 v1, vcc, v1, v4, vcc
	global_store_dwordx2 v[0:1], v[8:9], off
	ds_read2_b64 v[8:11], v115 offset0:88 offset1:178
	buffer_load_dword v12, off, s[24:27], 0 offset:48 ; 4-byte Folded Reload
	buffer_load_dword v13, off, s[24:27], 0 offset:52 ; 4-byte Folded Reload
	v_add_co_u32_e32 v0, vcc, s5, v0
	s_waitcnt vmcnt(0) lgkmcnt(0)
	v_mul_f32_e32 v4, v13, v9
	v_fmac_f32_e32 v4, v12, v8
	v_cvt_f64_f32_e32 v[4:5], v4
	v_mul_f64 v[4:5], v[4:5], s[2:3]
	v_cvt_f32_f64_e32 v4, v[4:5]
	v_mul_f32_e32 v5, v13, v8
	v_fma_f32 v5, v12, v9, -v5
	v_cvt_f64_f32_e32 v[8:9], v5
	v_mul_f64 v[8:9], v[8:9], s[2:3]
	v_cvt_f32_f64_e32 v5, v[8:9]
	v_mov_b32_e32 v8, s4
	v_addc_co_u32_e32 v1, vcc, v1, v8, vcc
	global_store_dwordx2 v[0:1], v[4:5], off
	buffer_load_dword v8, off, s[24:27], 0 offset:40 ; 4-byte Folded Reload
	buffer_load_dword v9, off, s[24:27], 0 offset:44 ; 4-byte Folded Reload
	v_add_co_u32_e32 v0, vcc, s0, v0
	s_waitcnt vmcnt(0)
	v_mul_f32_e32 v4, v9, v3
	v_fmac_f32_e32 v4, v8, v2
	v_mul_f32_e32 v2, v9, v2
	v_fma_f32 v2, v8, v3, -v2
	v_cvt_f64_f32_e32 v[4:5], v4
	v_cvt_f64_f32_e32 v[2:3], v2
	v_mul_f64 v[4:5], v[4:5], s[2:3]
	v_mul_f64 v[2:3], v[2:3], s[2:3]
	v_cvt_f32_f64_e32 v4, v[4:5]
	v_cvt_f32_f64_e32 v5, v[2:3]
	v_mov_b32_e32 v2, s1
	v_addc_co_u32_e32 v1, vcc, v1, v2, vcc
	global_store_dwordx2 v[0:1], v[4:5], off
	buffer_load_dword v3, off, s[24:27], 0 offset:64 ; 4-byte Folded Reload
	s_nop 0
	buffer_load_dword v4, off, s[24:27], 0 offset:68 ; 4-byte Folded Reload
	v_add_co_u32_e32 v0, vcc, s5, v0
	s_waitcnt vmcnt(0)
	v_mul_f32_e32 v2, v4, v7
	v_fmac_f32_e32 v2, v3, v6
	v_mov_b32_e32 v5, v4
	v_mov_b32_e32 v4, v3
	v_cvt_f64_f32_e32 v[2:3], v2
	v_mul_f64 v[2:3], v[2:3], s[2:3]
	v_cvt_f32_f64_e32 v2, v[2:3]
	v_mul_f32_e32 v3, v5, v6
	v_fma_f32 v3, v4, v7, -v3
	v_cvt_f64_f32_e32 v[3:4], v3
	v_mul_f64 v[3:4], v[3:4], s[2:3]
	v_cvt_f32_f64_e32 v3, v[3:4]
	v_mov_b32_e32 v4, s4
	v_addc_co_u32_e32 v1, vcc, v1, v4, vcc
	global_store_dwordx2 v[0:1], v[2:3], off
	buffer_load_dword v3, off, s[24:27], 0 offset:240 ; 4-byte Folded Reload
	s_nop 0
	buffer_load_dword v4, off, s[24:27], 0 offset:244 ; 4-byte Folded Reload
	v_add_co_u32_e32 v0, vcc, s5, v0
	s_waitcnt vmcnt(0)
	v_mul_f32_e32 v2, v4, v11
	v_fmac_f32_e32 v2, v3, v10
	v_mov_b32_e32 v5, v4
	v_mov_b32_e32 v4, v3
	v_cvt_f64_f32_e32 v[2:3], v2
	v_mul_f64 v[2:3], v[2:3], s[2:3]
	v_cvt_f32_f64_e32 v2, v[2:3]
	v_mul_f32_e32 v3, v5, v10
	v_fma_f32 v3, v4, v11, -v3
	v_cvt_f64_f32_e32 v[3:4], v3
	v_mul_f64 v[3:4], v[3:4], s[2:3]
	v_cvt_f32_f64_e32 v3, v[3:4]
	v_mov_b32_e32 v4, s4
	v_addc_co_u32_e32 v1, vcc, v1, v4, vcc
	global_store_dwordx2 v[0:1], v[2:3], off
.LBB0_2:
	s_endpgm
	.section	.rodata,"a",@progbits
	.p2align	6, 0x0
	.amdhsa_kernel bluestein_single_back_len2700_dim1_sp_op_CI_CI
		.amdhsa_group_segment_fixed_size 21600
		.amdhsa_private_segment_fixed_size 472
		.amdhsa_kernarg_size 104
		.amdhsa_user_sgpr_count 6
		.amdhsa_user_sgpr_private_segment_buffer 1
		.amdhsa_user_sgpr_dispatch_ptr 0
		.amdhsa_user_sgpr_queue_ptr 0
		.amdhsa_user_sgpr_kernarg_segment_ptr 1
		.amdhsa_user_sgpr_dispatch_id 0
		.amdhsa_user_sgpr_flat_scratch_init 0
		.amdhsa_user_sgpr_private_segment_size 0
		.amdhsa_uses_dynamic_stack 0
		.amdhsa_system_sgpr_private_segment_wavefront_offset 1
		.amdhsa_system_sgpr_workgroup_id_x 1
		.amdhsa_system_sgpr_workgroup_id_y 0
		.amdhsa_system_sgpr_workgroup_id_z 0
		.amdhsa_system_sgpr_workgroup_info 0
		.amdhsa_system_vgpr_workitem_id 0
		.amdhsa_next_free_vgpr 256
		.amdhsa_next_free_sgpr 28
		.amdhsa_reserve_vcc 1
		.amdhsa_reserve_flat_scratch 0
		.amdhsa_float_round_mode_32 0
		.amdhsa_float_round_mode_16_64 0
		.amdhsa_float_denorm_mode_32 3
		.amdhsa_float_denorm_mode_16_64 3
		.amdhsa_dx10_clamp 1
		.amdhsa_ieee_mode 1
		.amdhsa_fp16_overflow 0
		.amdhsa_exception_fp_ieee_invalid_op 0
		.amdhsa_exception_fp_denorm_src 0
		.amdhsa_exception_fp_ieee_div_zero 0
		.amdhsa_exception_fp_ieee_overflow 0
		.amdhsa_exception_fp_ieee_underflow 0
		.amdhsa_exception_fp_ieee_inexact 0
		.amdhsa_exception_int_div_zero 0
	.end_amdhsa_kernel
	.text
.Lfunc_end0:
	.size	bluestein_single_back_len2700_dim1_sp_op_CI_CI, .Lfunc_end0-bluestein_single_back_len2700_dim1_sp_op_CI_CI
                                        ; -- End function
	.section	.AMDGPU.csdata,"",@progbits
; Kernel info:
; codeLenInByte = 33108
; NumSgprs: 32
; NumVgprs: 256
; ScratchSize: 472
; MemoryBound: 0
; FloatMode: 240
; IeeeMode: 1
; LDSByteSize: 21600 bytes/workgroup (compile time only)
; SGPRBlocks: 3
; VGPRBlocks: 63
; NumSGPRsForWavesPerEU: 32
; NumVGPRsForWavesPerEU: 256
; Occupancy: 1
; WaveLimiterHint : 1
; COMPUTE_PGM_RSRC2:SCRATCH_EN: 1
; COMPUTE_PGM_RSRC2:USER_SGPR: 6
; COMPUTE_PGM_RSRC2:TRAP_HANDLER: 0
; COMPUTE_PGM_RSRC2:TGID_X_EN: 1
; COMPUTE_PGM_RSRC2:TGID_Y_EN: 0
; COMPUTE_PGM_RSRC2:TGID_Z_EN: 0
; COMPUTE_PGM_RSRC2:TIDIG_COMP_CNT: 0
	.type	__hip_cuid_18d755521cfbd5c8,@object ; @__hip_cuid_18d755521cfbd5c8
	.section	.bss,"aw",@nobits
	.globl	__hip_cuid_18d755521cfbd5c8
__hip_cuid_18d755521cfbd5c8:
	.byte	0                               ; 0x0
	.size	__hip_cuid_18d755521cfbd5c8, 1

	.ident	"AMD clang version 19.0.0git (https://github.com/RadeonOpenCompute/llvm-project roc-6.4.0 25133 c7fe45cf4b819c5991fe208aaa96edf142730f1d)"
	.section	".note.GNU-stack","",@progbits
	.addrsig
	.addrsig_sym __hip_cuid_18d755521cfbd5c8
	.amdgpu_metadata
---
amdhsa.kernels:
  - .args:
      - .actual_access:  read_only
        .address_space:  global
        .offset:         0
        .size:           8
        .value_kind:     global_buffer
      - .actual_access:  read_only
        .address_space:  global
        .offset:         8
        .size:           8
        .value_kind:     global_buffer
      - .actual_access:  read_only
        .address_space:  global
        .offset:         16
        .size:           8
        .value_kind:     global_buffer
      - .actual_access:  read_only
        .address_space:  global
        .offset:         24
        .size:           8
        .value_kind:     global_buffer
      - .actual_access:  read_only
        .address_space:  global
        .offset:         32
        .size:           8
        .value_kind:     global_buffer
      - .offset:         40
        .size:           8
        .value_kind:     by_value
      - .address_space:  global
        .offset:         48
        .size:           8
        .value_kind:     global_buffer
      - .address_space:  global
        .offset:         56
        .size:           8
        .value_kind:     global_buffer
      - .address_space:  global
        .offset:         64
        .size:           8
        .value_kind:     global_buffer
      - .address_space:  global
        .offset:         72
        .size:           8
        .value_kind:     global_buffer
      - .offset:         80
        .size:           4
        .value_kind:     by_value
      - .address_space:  global
        .offset:         88
        .size:           8
        .value_kind:     global_buffer
      - .address_space:  global
        .offset:         96
        .size:           8
        .value_kind:     global_buffer
    .group_segment_fixed_size: 21600
    .kernarg_segment_align: 8
    .kernarg_segment_size: 104
    .language:       OpenCL C
    .language_version:
      - 2
      - 0
    .max_flat_workgroup_size: 90
    .name:           bluestein_single_back_len2700_dim1_sp_op_CI_CI
    .private_segment_fixed_size: 472
    .sgpr_count:     32
    .sgpr_spill_count: 0
    .symbol:         bluestein_single_back_len2700_dim1_sp_op_CI_CI.kd
    .uniform_work_group_size: 1
    .uses_dynamic_stack: false
    .vgpr_count:     256
    .vgpr_spill_count: 117
    .wavefront_size: 64
amdhsa.target:   amdgcn-amd-amdhsa--gfx906
amdhsa.version:
  - 1
  - 2
...

	.end_amdgpu_metadata
